;; amdgpu-corpus repo=ROCm/rocFFT kind=compiled arch=gfx906 opt=O3
	.text
	.amdgcn_target "amdgcn-amd-amdhsa--gfx906"
	.amdhsa_code_object_version 6
	.protected	bluestein_single_back_len819_dim1_dp_op_CI_CI ; -- Begin function bluestein_single_back_len819_dim1_dp_op_CI_CI
	.globl	bluestein_single_back_len819_dim1_dp_op_CI_CI
	.p2align	8
	.type	bluestein_single_back_len819_dim1_dp_op_CI_CI,@function
bluestein_single_back_len819_dim1_dp_op_CI_CI: ; @bluestein_single_back_len819_dim1_dp_op_CI_CI
; %bb.0:
	s_load_dwordx4 s[0:3], s[4:5], 0x28
	v_mul_u32_u24_e32 v1, 0x231, v0
	v_add_u32_sdwa v124, s6, v1 dst_sel:DWORD dst_unused:UNUSED_PAD src0_sel:DWORD src1_sel:WORD_1
	v_mov_b32_e32 v125, 0
	s_waitcnt lgkmcnt(0)
	v_cmp_gt_u64_e32 vcc, s[0:1], v[124:125]
	s_and_saveexec_b64 s[0:1], vcc
	s_cbranch_execz .LBB0_23
; %bb.1:
	s_load_dwordx2 s[12:13], s[4:5], 0x0
	s_load_dwordx2 s[6:7], s[4:5], 0x38
	s_movk_i32 s0, 0x75
	v_mul_lo_u16_sdwa v1, v1, s0 dst_sel:DWORD dst_unused:UNUSED_PAD src0_sel:WORD_1 src1_sel:DWORD
	v_sub_u16_e32 v156, v0, v1
	s_movk_i32 s0, 0x5b
	v_cmp_gt_u16_e64 s[0:1], s0, v156
	v_lshlrev_b32_e32 v155, 4, v156
	s_and_saveexec_b64 s[14:15], s[0:1]
	s_cbranch_execz .LBB0_3
; %bb.2:
	s_load_dwordx2 s[8:9], s[4:5], 0x18
	s_waitcnt lgkmcnt(0)
	v_mov_b32_e32 v12, s13
	s_load_dwordx4 s[8:11], s[8:9], 0x0
	s_waitcnt lgkmcnt(0)
	v_mad_u64_u32 v[0:1], s[16:17], s10, v124, 0
	v_mad_u64_u32 v[2:3], s[16:17], s8, v156, 0
	;; [unrolled: 1-line block ×4, first 2 shown]
	v_mov_b32_e32 v1, v4
	v_lshlrev_b64 v[0:1], 4, v[0:1]
	v_mov_b32_e32 v3, v5
	v_mov_b32_e32 v6, s3
	v_lshlrev_b64 v[2:3], 4, v[2:3]
	v_add_co_u32_e32 v0, vcc, s2, v0
	v_addc_co_u32_e32 v1, vcc, v6, v1, vcc
	v_add_co_u32_e32 v44, vcc, v0, v2
	v_addc_co_u32_e32 v45, vcc, v1, v3, vcc
	v_add_co_u32_e32 v13, vcc, s12, v155
	s_movk_i32 s2, 0x1000
	v_addc_co_u32_e32 v12, vcc, 0, v12, vcc
	v_add_co_u32_e32 v36, vcc, s2, v13
	s_movk_i32 s3, 0x2000
	v_addc_co_u32_e32 v37, vcc, 0, v12, vcc
	v_add_co_u32_e32 v38, vcc, s3, v13
	s_mul_i32 s2, s9, 0x5b0
	s_mul_hi_u32 s3, s8, 0x5b0
	v_addc_co_u32_e32 v39, vcc, 0, v12, vcc
	s_mulk_i32 s8, 0x5b0
	s_add_i32 s2, s3, s2
	global_load_dwordx4 v[0:3], v155, s[12:13]
	global_load_dwordx4 v[4:7], v155, s[12:13] offset:1456
	global_load_dwordx4 v[8:11], v155, s[12:13] offset:2912
	global_load_dwordx4 v[12:15], v[36:37], off offset:272
	global_load_dwordx4 v[16:19], v[36:37], off offset:1728
	;; [unrolled: 1-line block ×6, first 2 shown]
	v_mov_b32_e32 v36, s2
	v_add_co_u32_e32 v46, vcc, s8, v44
	v_addc_co_u32_e32 v47, vcc, v45, v36, vcc
	v_mov_b32_e32 v48, s2
	v_add_co_u32_e32 v52, vcc, s8, v46
	global_load_dwordx4 v[36:39], v[44:45], off
	global_load_dwordx4 v[40:43], v[46:47], off
	v_addc_co_u32_e32 v53, vcc, v47, v48, vcc
	v_mov_b32_e32 v49, s2
	v_add_co_u32_e32 v54, vcc, s8, v52
	v_addc_co_u32_e32 v55, vcc, v53, v49, vcc
	v_mov_b32_e32 v57, s2
	v_add_co_u32_e32 v56, vcc, s8, v54
	v_addc_co_u32_e32 v57, vcc, v55, v57, vcc
	global_load_dwordx4 v[44:47], v[52:53], off
	global_load_dwordx4 v[48:51], v[54:55], off
	v_mov_b32_e32 v58, s2
	global_load_dwordx4 v[52:55], v[56:57], off
	v_add_co_u32_e32 v60, vcc, s8, v56
	v_addc_co_u32_e32 v61, vcc, v57, v58, vcc
	v_mov_b32_e32 v62, s2
	v_add_co_u32_e32 v64, vcc, s8, v60
	v_addc_co_u32_e32 v65, vcc, v61, v62, vcc
	v_mov_b32_e32 v66, s2
	v_add_co_u32_e32 v68, vcc, s8, v64
	global_load_dwordx4 v[56:59], v[60:61], off
	v_addc_co_u32_e32 v69, vcc, v65, v66, vcc
	v_mov_b32_e32 v70, s2
	global_load_dwordx4 v[60:63], v[64:65], off
	s_waitcnt vmcnt(6)
	v_mul_f64 v[72:73], v[38:39], v[2:3]
	global_load_dwordx4 v[64:67], v[68:69], off
	v_add_co_u32_e32 v68, vcc, s8, v68
	v_addc_co_u32_e32 v69, vcc, v69, v70, vcc
	global_load_dwordx4 v[68:71], v[68:69], off
	v_mul_f64 v[2:3], v[36:37], v[2:3]
	s_waitcnt vmcnt(7)
	v_mul_f64 v[74:75], v[42:43], v[6:7]
	v_mul_f64 v[6:7], v[40:41], v[6:7]
	v_fma_f64 v[36:37], v[36:37], v[0:1], v[72:73]
	s_waitcnt vmcnt(6)
	v_mul_f64 v[76:77], v[46:47], v[10:11]
	v_mul_f64 v[10:11], v[44:45], v[10:11]
	s_waitcnt vmcnt(5)
	v_mul_f64 v[78:79], v[50:51], v[14:15]
	v_mul_f64 v[14:15], v[48:49], v[14:15]
	;; [unrolled: 3-line block ×3, first 2 shown]
	v_fma_f64 v[38:39], v[38:39], v[0:1], -v[2:3]
	v_fma_f64 v[0:1], v[40:41], v[4:5], v[74:75]
	v_fma_f64 v[2:3], v[42:43], v[4:5], -v[6:7]
	v_fma_f64 v[4:5], v[44:45], v[8:9], v[76:77]
	;; [unrolled: 2-line block ×4, first 2 shown]
	v_fma_f64 v[14:15], v[54:55], v[16:17], -v[18:19]
	ds_write_b128 v155, v[36:39]
	s_waitcnt vmcnt(3)
	v_mul_f64 v[16:17], v[58:59], v[22:23]
	v_mul_f64 v[18:19], v[56:57], v[22:23]
	s_waitcnt vmcnt(2)
	v_mul_f64 v[22:23], v[62:63], v[26:27]
	v_mul_f64 v[26:27], v[60:61], v[26:27]
	v_fma_f64 v[16:17], v[56:57], v[20:21], v[16:17]
	v_fma_f64 v[18:19], v[58:59], v[20:21], -v[18:19]
	v_fma_f64 v[20:21], v[60:61], v[24:25], v[22:23]
	v_fma_f64 v[22:23], v[62:63], v[24:25], -v[26:27]
	s_waitcnt vmcnt(1)
	v_mul_f64 v[36:37], v[66:67], v[30:31]
	v_mul_f64 v[30:31], v[64:65], v[30:31]
	s_waitcnt vmcnt(0)
	v_mul_f64 v[38:39], v[70:71], v[34:35]
	v_mul_f64 v[34:35], v[68:69], v[34:35]
	v_fma_f64 v[24:25], v[64:65], v[28:29], v[36:37]
	v_fma_f64 v[26:27], v[66:67], v[28:29], -v[30:31]
	v_fma_f64 v[28:29], v[68:69], v[32:33], v[38:39]
	v_fma_f64 v[30:31], v[70:71], v[32:33], -v[34:35]
	ds_write_b128 v155, v[0:3] offset:1456
	ds_write_b128 v155, v[4:7] offset:2912
	;; [unrolled: 1-line block ×8, first 2 shown]
.LBB0_3:
	s_or_b64 exec, exec, s[14:15]
	s_load_dwordx2 s[2:3], s[4:5], 0x20
	s_load_dwordx2 s[14:15], s[4:5], 0x8
	s_waitcnt lgkmcnt(0)
	s_barrier
	s_waitcnt lgkmcnt(0)
                                        ; implicit-def: $vgpr0_vgpr1
                                        ; implicit-def: $vgpr12_vgpr13
                                        ; implicit-def: $vgpr16_vgpr17
                                        ; implicit-def: $vgpr20_vgpr21
                                        ; implicit-def: $vgpr4_vgpr5
                                        ; implicit-def: $vgpr8_vgpr9
                                        ; implicit-def: $vgpr24_vgpr25
                                        ; implicit-def: $vgpr28_vgpr29
                                        ; implicit-def: $vgpr32_vgpr33
	s_and_saveexec_b64 s[4:5], s[0:1]
	s_cbranch_execz .LBB0_5
; %bb.4:
	ds_read_b128 v[0:3], v155
	ds_read_b128 v[12:15], v155 offset:1456
	ds_read_b128 v[16:19], v155 offset:2912
	;; [unrolled: 1-line block ×8, first 2 shown]
.LBB0_5:
	s_or_b64 exec, exec, s[4:5]
	s_waitcnt lgkmcnt(0)
	v_add_f64 v[42:43], v[12:13], -v[32:33]
	v_add_f64 v[38:39], v[14:15], -v[34:35]
	s_mov_b32 s17, 0x3fe491b7
	s_mov_b32 s16, 0x523c161c
	v_add_f64 v[36:37], v[12:13], v[32:33]
	v_add_f64 v[40:41], v[16:17], -v[28:29]
	v_add_f64 v[32:33], v[18:19], -v[30:31]
	s_mov_b32 s18, 0x8c811c17
	v_mul_f64 v[12:13], v[42:43], s[16:17]
	v_mul_f64 v[44:45], v[38:39], s[16:17]
	s_mov_b32 s19, 0x3fef838b
	v_add_f64 v[34:35], v[14:15], v[34:35]
	v_add_f64 v[50:51], v[20:21], -v[24:25]
	v_add_f64 v[46:47], v[22:23], -v[26:27]
	v_add_f64 v[20:21], v[20:21], v[24:25]
	v_add_f64 v[26:27], v[22:23], v[26:27]
	v_fma_f64 v[12:13], v[40:41], s[18:19], v[12:13]
	v_fma_f64 v[14:15], v[32:33], s[18:19], v[44:45]
	v_add_f64 v[44:45], v[18:19], v[30:31]
	v_add_f64 v[24:25], v[4:5], -v[8:9]
	v_add_f64 v[22:23], v[6:7], -v[10:11]
	v_add_f64 v[30:31], v[4:5], v[8:9]
	v_add_f64 v[48:49], v[6:7], v[10:11]
	s_mov_b32 s4, 0xe8584cab
	s_mov_b32 s24, 0xa2cf5039
	;; [unrolled: 1-line block ×4, first 2 shown]
	v_add_f64 v[28:29], v[16:17], v[28:29]
	v_fma_f64 v[12:13], v[50:51], s[4:5], v[12:13]
	v_fma_f64 v[14:15], v[46:47], s[4:5], v[14:15]
	;; [unrolled: 1-line block ×4, first 2 shown]
	v_mul_f64 v[52:53], v[24:25], s[16:17]
	v_mul_f64 v[54:55], v[22:23], s[16:17]
	v_fma_f64 v[56:57], v[30:31], s[24:25], v[0:1]
	v_fma_f64 v[58:59], v[48:49], s[24:25], v[2:3]
	s_mov_b32 s10, 0x748a0bf8
	s_mov_b32 s22, 0x7e0b738b
	;; [unrolled: 1-line block ×4, first 2 shown]
	v_fma_f64 v[16:17], v[28:29], s[22:23], v[16:17]
	v_fma_f64 v[18:19], v[44:45], s[22:23], v[18:19]
	;; [unrolled: 1-line block ×4, first 2 shown]
	v_fma_f64 v[12:13], v[42:43], s[18:19], -v[52:53]
	v_fma_f64 v[14:15], v[38:39], s[18:19], -v[54:55]
	v_fma_f64 v[52:53], v[36:37], s[22:23], v[56:57]
	v_fma_f64 v[54:55], v[34:35], s[22:23], v[58:59]
	s_mov_b32 s21, 0xbfebb67a
	s_mov_b32 s20, s4
	v_fma_f64 v[16:17], v[20:21], -0.5, v[16:17]
	v_fma_f64 v[18:19], v[26:27], -0.5, v[18:19]
	v_fma_f64 v[12:13], v[50:51], s[20:21], v[12:13]
	v_fma_f64 v[14:15], v[46:47], s[20:21], v[14:15]
	v_fma_f64 v[52:53], v[20:21], -0.5, v[52:53]
	v_fma_f64 v[54:55], v[26:27], -0.5, v[54:55]
	s_mov_b32 s26, 0x42522d1b
	s_mov_b32 s27, 0xbfee11f6
	v_fma_f64 v[16:17], v[30:31], s[26:27], v[16:17]
	v_fma_f64 v[18:19], v[48:49], s[26:27], v[18:19]
	;; [unrolled: 1-line block ×6, first 2 shown]
	v_mul_lo_u16_e32 v157, 9, v156
	v_add_f64 v[16:17], v[62:63], v[16:17]
	v_add_f64 v[18:19], v[18:19], -v[60:61]
	s_barrier
	v_add_f64 v[12:13], v[12:13], v[58:59]
	v_add_f64 v[14:15], v[14:15], -v[56:57]
	v_fma_f64 v[76:77], v[62:63], -2.0, v[16:17]
	v_fma_f64 v[78:79], v[60:61], 2.0, v[18:19]
	v_fma_f64 v[72:73], v[58:59], -2.0, v[12:13]
	v_fma_f64 v[74:75], v[56:57], 2.0, v[14:15]
	s_and_saveexec_b64 s[8:9], s[0:1]
	s_cbranch_execz .LBB0_7
; %bb.6:
	v_mul_f64 v[52:53], v[24:25], s[18:19]
	v_fma_f64 v[54:55], v[44:45], s[24:25], v[2:3]
	v_mul_f64 v[58:59], v[22:23], s[18:19]
	v_fma_f64 v[60:61], v[28:29], s[24:25], v[0:1]
	s_mov_b32 s17, 0xbfe491b7
	v_mul_f64 v[50:51], v[50:51], s[4:5]
	v_mul_f64 v[56:57], v[26:27], 0.5
	v_add_f64 v[44:45], v[44:45], v[34:35]
	v_fma_f64 v[52:53], v[40:41], s[16:17], -v[52:53]
	v_fma_f64 v[54:55], v[48:49], s[22:23], v[54:55]
	v_add_f64 v[28:29], v[28:29], v[36:37]
	v_mul_f64 v[46:47], v[46:47], s[4:5]
	v_mul_f64 v[62:63], v[20:21], 0.5
	v_fma_f64 v[58:59], v[32:33], s[16:17], -v[58:59]
	v_fma_f64 v[60:61], v[30:31], s[22:23], v[60:61]
	v_add_f64 v[24:25], v[24:25], v[42:43]
	v_add_f64 v[50:51], v[50:51], v[52:53]
	v_add_f64 v[52:53], v[54:55], -v[56:57]
	v_add_f64 v[54:55], v[2:3], v[26:27]
	v_add_f64 v[26:27], v[26:27], v[44:45]
	;; [unrolled: 1-line block ×5, first 2 shown]
	v_add_f64 v[48:49], v[60:61], -v[62:63]
	v_add_f64 v[22:23], v[22:23], v[38:39]
	v_add_f64 v[20:21], v[0:1], v[20:21]
	;; [unrolled: 1-line block ×5, first 2 shown]
	v_fma_f64 v[50:51], v[42:43], s[10:11], v[50:51]
	v_fma_f64 v[34:35], v[34:35], s[26:27], v[52:53]
	;; [unrolled: 1-line block ×4, first 2 shown]
	v_add_f64 v[24:25], v[24:25], -v[40:41]
	v_fma_f64 v[36:37], v[44:45], -0.5, v[54:55]
	v_add_f64 v[22:23], v[22:23], -v[32:33]
	v_fma_f64 v[20:21], v[28:29], -0.5, v[20:21]
	v_add_f64 v[28:29], v[10:11], v[6:7]
	v_add_f64 v[32:33], v[8:9], v[4:5]
	v_add_f64 v[6:7], v[34:35], -v[50:51]
	v_add_f64 v[4:5], v[26:27], v[30:31]
	v_mul_f64 v[30:31], v[24:25], s[4:5]
	v_fma_f64 v[10:11], v[24:25], s[20:21], v[36:37]
	v_mul_f64 v[24:25], v[22:23], s[4:5]
	v_fma_f64 v[8:9], v[22:23], s[4:5], v[20:21]
	v_add_f64 v[2:3], v[2:3], v[28:29]
	v_add_f64 v[0:1], v[0:1], v[32:33]
	v_fma_f64 v[22:23], v[50:51], 2.0, v[6:7]
	v_fma_f64 v[20:21], v[26:27], -2.0, v[4:5]
	v_lshlrev_b32_e32 v28, 4, v157
	v_fma_f64 v[26:27], v[30:31], 2.0, v[10:11]
	v_fma_f64 v[24:25], v[24:25], -2.0, v[8:9]
	ds_write_b128 v28, v[0:3]
	ds_write_b128 v28, v[16:19] offset:16
	ds_write_b128 v28, v[12:15] offset:32
	;; [unrolled: 1-line block ×8, first 2 shown]
.LBB0_7:
	s_or_b64 exec, exec, s[8:9]
	v_mov_b32_e32 v0, 57
	v_mul_lo_u16_sdwa v0, v156, v0 dst_sel:DWORD dst_unused:UNUSED_PAD src0_sel:BYTE_0 src1_sel:DWORD
	v_lshrrev_b16_e32 v68, 9, v0
	v_mul_lo_u16_e32 v0, 9, v68
	v_sub_u16_e32 v0, v156, v0
	v_and_b32_e32 v69, 0xff, v0
	v_mul_u32_u24_e32 v0, 6, v69
	v_lshlrev_b32_e32 v54, 4, v0
	s_load_dwordx4 s[8:11], s[2:3], 0x0
	s_waitcnt lgkmcnt(0)
	s_barrier
	ds_read_b128 v[24:27], v155
	ds_read_b128 v[16:19], v155 offset:1872
	ds_read_b128 v[20:23], v155 offset:3744
	;; [unrolled: 1-line block ×6, first 2 shown]
	global_load_dwordx4 v[0:3], v54, s[14:15] offset:48
	global_load_dwordx4 v[4:7], v54, s[14:15] offset:32
	global_load_dwordx4 v[8:11], v54, s[14:15] offset:16
	global_load_dwordx4 v[12:15], v54, s[14:15]
	s_mov_b32 s2, 0x37e14327
	s_mov_b32 s3, 0x3fe948f6
	;; [unrolled: 1-line block ×6, first 2 shown]
                                        ; implicit-def: $vgpr108_vgpr109
                                        ; implicit-def: $vgpr112_vgpr113
                                        ; implicit-def: $vgpr116_vgpr117
                                        ; implicit-def: $vgpr120_vgpr121
	s_waitcnt vmcnt(0) lgkmcnt(5)
	v_mul_f64 v[44:45], v[18:19], v[14:15]
	v_fma_f64 v[44:45], v[16:17], v[12:13], -v[44:45]
	v_mul_f64 v[16:17], v[16:17], v[14:15]
	v_fma_f64 v[46:47], v[18:19], v[12:13], v[16:17]
	s_waitcnt lgkmcnt(4)
	v_mul_f64 v[16:17], v[22:23], v[10:11]
	v_fma_f64 v[48:49], v[20:21], v[8:9], -v[16:17]
	v_mul_f64 v[16:17], v[20:21], v[10:11]
	v_fma_f64 v[50:51], v[22:23], v[8:9], v[16:17]
	s_waitcnt lgkmcnt(3)
	;; [unrolled: 5-line block ×3, first 2 shown]
	v_mul_f64 v[16:17], v[34:35], v[2:3]
	v_fma_f64 v[30:31], v[32:33], v[0:1], -v[16:17]
	v_mul_f64 v[16:17], v[32:33], v[2:3]
	v_fma_f64 v[32:33], v[34:35], v[0:1], v[16:17]
	global_load_dwordx4 v[16:19], v54, s[14:15] offset:80
	global_load_dwordx4 v[20:23], v54, s[14:15] offset:64
	s_waitcnt vmcnt(0) lgkmcnt(0)
	s_barrier
	v_mul_f64 v[34:35], v[38:39], v[22:23]
	v_fma_f64 v[34:35], v[36:37], v[20:21], -v[34:35]
	v_mul_f64 v[36:37], v[36:37], v[22:23]
	v_fma_f64 v[36:37], v[38:39], v[20:21], v[36:37]
	v_mul_f64 v[38:39], v[42:43], v[18:19]
	v_fma_f64 v[38:39], v[40:41], v[16:17], -v[38:39]
	v_mul_f64 v[40:41], v[40:41], v[18:19]
	v_fma_f64 v[40:41], v[42:43], v[16:17], v[40:41]
	v_add_f64 v[42:43], v[44:45], v[38:39]
	v_add_f64 v[38:39], v[44:45], -v[38:39]
	v_add_f64 v[44:45], v[48:49], v[34:35]
	v_add_f64 v[34:35], v[48:49], -v[34:35]
	v_add_f64 v[48:49], v[52:53], v[30:31]
	v_add_f64 v[30:31], v[30:31], -v[52:53]
	v_add_f64 v[54:55], v[46:47], v[40:41]
	v_add_f64 v[40:41], v[46:47], -v[40:41]
	v_add_f64 v[46:47], v[50:51], v[36:37]
	v_add_f64 v[36:37], v[50:51], -v[36:37]
	v_add_f64 v[50:51], v[28:29], v[32:33]
	v_add_f64 v[28:29], v[32:33], -v[28:29]
	v_add_f64 v[32:33], v[44:45], v[42:43]
	v_add_f64 v[56:57], v[44:45], -v[42:43]
	v_add_f64 v[42:43], v[42:43], -v[48:49]
	v_add_f64 v[44:45], v[48:49], -v[44:45]
	v_add_f64 v[52:53], v[46:47], v[54:55]
	v_add_f64 v[58:59], v[46:47], -v[54:55]
	v_add_f64 v[54:55], v[54:55], -v[50:51]
	;; [unrolled: 1-line block ×3, first 2 shown]
	v_add_f64 v[32:33], v[48:49], v[32:33]
	v_add_f64 v[64:65], v[30:31], -v[34:35]
	v_add_f64 v[66:67], v[28:29], -v[36:37]
	v_add_f64 v[60:61], v[30:31], v[34:35]
	v_add_f64 v[48:49], v[50:51], v[52:53]
	;; [unrolled: 1-line block ×3, first 2 shown]
	v_add_f64 v[34:35], v[34:35], -v[38:39]
	v_add_f64 v[36:37], v[36:37], -v[40:41]
	v_add_f64 v[80:81], v[24:25], v[32:33]
	v_mul_f64 v[24:25], v[42:43], s[2:3]
	v_mul_f64 v[52:53], v[64:65], s[4:5]
	v_add_f64 v[30:31], v[38:39], -v[30:31]
	v_add_f64 v[82:83], v[26:27], v[48:49]
	v_mul_f64 v[26:27], v[54:55], s[2:3]
	s_mov_b32 s2, 0x36b3c0b5
	s_mov_b32 s3, 0x3fac98ee
	v_mul_f64 v[42:43], v[44:45], s[2:3]
	v_mul_f64 v[50:51], v[46:47], s[2:3]
	;; [unrolled: 1-line block ×3, first 2 shown]
	s_mov_b32 s4, 0x429ad128
	v_add_f64 v[28:29], v[40:41], -v[28:29]
	s_mov_b32 s5, 0x3febfeb5
	v_add_f64 v[38:39], v[60:61], v[38:39]
	v_add_f64 v[40:41], v[62:63], v[40:41]
	v_mul_f64 v[60:61], v[34:35], s[4:5]
	v_mul_f64 v[62:63], v[36:37], s[4:5]
	v_fma_f64 v[44:45], v[44:45], s[2:3], v[24:25]
	v_fma_f64 v[46:47], v[46:47], s[2:3], v[26:27]
	s_mov_b32 s3, 0x3fe77f67
	s_mov_b32 s2, 0x5476071b
	v_fma_f64 v[42:43], v[56:57], s[2:3], -v[42:43]
	v_fma_f64 v[50:51], v[58:59], s[2:3], -v[50:51]
	s_mov_b32 s3, 0xbfe77f67
	v_fma_f64 v[24:25], v[56:57], s[2:3], -v[24:25]
	v_fma_f64 v[26:27], v[58:59], s[2:3], -v[26:27]
	s_mov_b32 s3, 0x3fd5d0dc
	s_mov_b32 s2, 0xb247c609
	v_fma_f64 v[56:57], v[30:31], s[2:3], v[52:53]
	v_fma_f64 v[58:59], v[28:29], s[2:3], v[54:55]
	s_mov_b32 s3, 0xbfd5d0dc
	v_fma_f64 v[32:33], v[32:33], s[16:17], v[80:81]
	v_fma_f64 v[48:49], v[48:49], s[16:17], v[82:83]
	v_fma_f64 v[34:35], v[34:35], s[4:5], -v[52:53]
	v_fma_f64 v[36:37], v[36:37], s[4:5], -v[54:55]
	v_fma_f64 v[30:31], v[30:31], s[2:3], -v[60:61]
	v_fma_f64 v[28:29], v[28:29], s[2:3], -v[62:63]
	s_mov_b32 s2, 0x37c3f68c
	s_mov_b32 s3, 0x3fdc38aa
	v_add_f64 v[44:45], v[44:45], v[32:33]
	v_add_f64 v[46:47], v[46:47], v[48:49]
	;; [unrolled: 1-line block ×6, first 2 shown]
	v_fma_f64 v[32:33], v[38:39], s[2:3], v[56:57]
	v_fma_f64 v[48:49], v[40:41], s[2:3], v[58:59]
	;; [unrolled: 1-line block ×6, first 2 shown]
	v_cmp_gt_u16_e64 s[2:3], 63, v156
	v_add_f64 v[86:87], v[46:47], -v[32:33]
	v_add_f64 v[84:85], v[48:49], v[44:45]
	v_add_f64 v[94:95], v[34:35], v[50:51]
	v_add_f64 v[92:93], v[42:43], -v[36:37]
	v_add_f64 v[90:91], v[26:27], -v[30:31]
	v_add_f64 v[88:89], v[28:29], v[24:25]
	v_add_f64 v[96:97], v[36:37], v[42:43]
	v_add_f64 v[98:99], v[50:51], -v[34:35]
	v_add_f64 v[100:101], v[24:25], -v[28:29]
	v_add_f64 v[102:103], v[30:31], v[26:27]
	v_add_f64 v[104:105], v[44:45], -v[48:49]
	v_add_f64 v[106:107], v[32:33], v[46:47]
	v_mul_u32_u24_e32 v24, 63, v68
	v_add_lshl_u32 v158, v24, v69, 4
	ds_write_b128 v158, v[80:83]
	ds_write_b128 v158, v[84:87] offset:144
	ds_write_b128 v158, v[88:91] offset:288
	ds_write_b128 v158, v[92:95] offset:432
	ds_write_b128 v158, v[96:99] offset:576
	ds_write_b128 v158, v[100:103] offset:720
	ds_write_b128 v158, v[104:107] offset:864
	s_waitcnt lgkmcnt(0)
	s_barrier
	s_and_saveexec_b64 s[4:5], s[2:3]
	s_cbranch_execz .LBB0_9
; %bb.8:
	ds_read_b128 v[80:83], v155
	ds_read_b128 v[84:87], v155 offset:1008
	ds_read_b128 v[88:91], v155 offset:2016
	;; [unrolled: 1-line block ×12, first 2 shown]
.LBB0_9:
	s_or_b64 exec, exec, s[4:5]
	v_subrev_u32_e32 v24, 63, v156
	v_cndmask_b32_e64 v24, v24, v156, s[2:3]
	v_mul_hi_i32_i24_e32 v25, 0xc0, v24
	v_mul_i32_i24_e32 v24, 0xc0, v24
	v_mov_b32_e32 v26, s15
	v_add_co_u32_e32 v48, vcc, s14, v24
	v_addc_co_u32_e32 v49, vcc, v26, v25, vcc
	global_load_dwordx4 v[28:31], v[48:49], off offset:864
	global_load_dwordx4 v[24:27], v[48:49], off offset:880
	;; [unrolled: 1-line block ×11, first 2 shown]
	s_nop 0
	global_load_dwordx4 v[48:51], v[48:49], off offset:1024
	s_mov_b32 s28, 0x42a4c3d2
	s_mov_b32 s34, 0x66966769
	;; [unrolled: 1-line block ×30, first 2 shown]
	s_waitcnt vmcnt(11) lgkmcnt(11)
	v_mul_f64 v[125:126], v[86:87], v[30:31]
	v_mul_f64 v[127:128], v[84:85], v[30:31]
	s_waitcnt vmcnt(10) lgkmcnt(10)
	v_mul_f64 v[129:130], v[90:91], v[26:27]
	v_mul_f64 v[131:132], v[88:89], v[26:27]
	s_waitcnt vmcnt(7) lgkmcnt(7)
	v_mul_f64 v[143:144], v[100:101], v[42:43]
	s_waitcnt vmcnt(6) lgkmcnt(6)
	;; [unrolled: 2-line block ×3, first 2 shown]
	v_mul_f64 v[149:150], v[74:75], v[70:71]
	v_mul_f64 v[151:152], v[72:73], v[70:71]
	s_waitcnt vmcnt(3) lgkmcnt(0)
	v_mul_f64 v[163:164], v[122:123], v[54:55]
	v_mul_f64 v[159:160], v[120:121], v[54:55]
	v_fma_f64 v[84:85], v[84:85], v[28:29], -v[125:126]
	v_mul_f64 v[133:134], v[94:95], v[34:35]
	v_mul_f64 v[141:142], v[102:103], v[42:43]
	;; [unrolled: 1-line block ×3, first 2 shown]
	v_fma_f64 v[183:184], v[72:73], v[68:69], -v[149:150]
	v_fma_f64 v[72:73], v[74:75], v[68:69], v[151:152]
	v_fma_f64 v[74:75], v[120:121], v[52:53], -v[163:164]
	v_fma_f64 v[86:87], v[86:87], v[28:29], v[127:128]
	;; [unrolled: 2-line block ×4, first 2 shown]
	v_mul_f64 v[135:136], v[92:93], v[34:35]
	v_mul_f64 v[137:138], v[98:99], v[38:39]
	v_add_f64 v[102:103], v[84:85], v[74:75]
	v_add_f64 v[104:105], v[84:85], -v[74:75]
	v_add_f64 v[84:85], v[80:81], v[84:85]
	v_fma_f64 v[90:91], v[90:91], v[24:25], v[131:132]
	v_fma_f64 v[131:132], v[92:93], v[32:33], -v[133:134]
	v_fma_f64 v[177:178], v[100:101], v[40:41], -v[141:142]
	v_fma_f64 v[92:93], v[106:107], v[64:65], v[147:148]
	v_add_f64 v[100:101], v[86:87], -v[159:160]
	v_add_f64 v[106:107], v[86:87], v[159:160]
	v_add_f64 v[86:87], v[82:83], v[86:87]
	;; [unrolled: 1-line block ×3, first 2 shown]
	v_mul_f64 v[139:140], v[96:97], v[38:39]
	v_fma_f64 v[94:95], v[94:95], v[32:33], v[135:136]
	v_fma_f64 v[96:97], v[96:97], v[36:37], -v[137:138]
	s_waitcnt vmcnt(2)
	v_mul_f64 v[165:166], v[110:111], v[62:63]
	v_mul_f64 v[167:168], v[108:109], v[62:63]
	s_waitcnt vmcnt(1)
	v_mul_f64 v[169:170], v[114:115], v[46:47]
	v_add_f64 v[86:87], v[86:87], v[90:91]
	v_add_f64 v[84:85], v[84:85], v[131:132]
	v_fma_f64 v[98:99], v[98:99], v[36:37], v[139:140]
	v_mul_f64 v[171:172], v[112:113], v[46:47]
	s_waitcnt vmcnt(0)
	v_mul_f64 v[173:174], v[118:119], v[50:51]
	v_mul_f64 v[153:154], v[78:79], v[58:59]
	;; [unrolled: 1-line block ×3, first 2 shown]
	v_fma_f64 v[135:136], v[108:109], v[60:61], -v[165:166]
	v_add_f64 v[86:87], v[86:87], v[94:95]
	v_add_f64 v[84:85], v[84:85], v[96:97]
	v_fma_f64 v[145:146], v[110:111], v[60:61], v[167:168]
	v_fma_f64 v[137:138], v[112:113], v[44:45], -v[169:170]
	v_fma_f64 v[139:140], v[114:115], v[44:45], v[171:172]
	v_fma_f64 v[141:142], v[116:117], v[48:49], -v[173:174]
	v_mul_f64 v[108:109], v[100:101], s[22:23]
	v_mul_f64 v[110:111], v[100:101], s[28:29]
	v_add_f64 v[86:87], v[86:87], v[98:99]
	v_add_f64 v[84:85], v[84:85], v[177:178]
	v_mul_f64 v[112:113], v[100:101], s[34:35]
	v_mul_f64 v[114:115], v[100:101], s[20:21]
	;; [unrolled: 1-line block ×5, first 2 shown]
	v_fma_f64 v[76:77], v[76:77], v[56:57], -v[153:154]
	v_add_f64 v[86:87], v[86:87], v[179:180]
	v_add_f64 v[84:85], v[84:85], v[181:182]
	v_fma_f64 v[147:148], v[118:119], v[48:49], v[175:176]
	v_mul_f64 v[118:119], v[104:105], s[22:23]
	v_fma_f64 v[120:121], v[102:103], s[14:15], -v[108:109]
	v_fma_f64 v[108:109], v[102:103], s[14:15], v[108:109]
	v_fma_f64 v[122:123], v[102:103], s[16:17], -v[110:111]
	v_fma_f64 v[110:111], v[102:103], s[16:17], v[110:111]
	;; [unrolled: 2-line block ×6, first 2 shown]
	v_mul_f64 v[102:103], v[104:105], s[28:29]
	v_mul_f64 v[143:144], v[104:105], s[34:35]
	;; [unrolled: 1-line block ×5, first 2 shown]
	v_add_f64 v[86:87], v[86:87], v[92:93]
	v_add_f64 v[84:85], v[84:85], v[183:184]
	v_fma_f64 v[78:79], v[78:79], v[56:57], v[161:162]
	v_add_f64 v[187:188], v[80:81], v[108:109]
	v_fma_f64 v[100:101], v[106:107], s[14:15], v[118:119]
	v_fma_f64 v[118:119], v[106:107], s[14:15], -v[118:119]
	v_fma_f64 v[161:162], v[106:107], s[16:17], v[102:103]
	v_fma_f64 v[171:172], v[106:107], s[30:31], v[104:105]
	v_fma_f64 v[173:174], v[106:107], s[30:31], -v[104:105]
	v_add_f64 v[104:105], v[80:81], v[112:113]
	v_add_f64 v[108:109], v[86:87], v[72:73]
	;; [unrolled: 1-line block ×3, first 2 shown]
	v_fma_f64 v[102:103], v[106:107], s[16:17], -v[102:103]
	v_fma_f64 v[163:164], v[106:107], s[4:5], v[143:144]
	v_fma_f64 v[143:144], v[106:107], s[4:5], -v[143:144]
	v_fma_f64 v[165:166], v[106:107], s[18:19], v[151:152]
	;; [unrolled: 2-line block ×3, first 2 shown]
	v_fma_f64 v[169:170], v[106:107], s[24:25], -v[153:154]
	v_add_f64 v[191:192], v[80:81], v[122:123]
	v_add_f64 v[106:107], v[80:81], v[127:128]
	;; [unrolled: 1-line block ×3, first 2 shown]
	v_add_f64 v[122:123], v[90:91], -v[147:148]
	v_add_f64 v[127:128], v[112:113], v[135:136]
	v_add_f64 v[175:176], v[80:81], v[120:121]
	;; [unrolled: 1-line block ×13, first 2 shown]
	v_mul_f64 v[165:166], v[122:123], s[28:29]
	v_add_f64 v[125:126], v[88:89], -v[141:142]
	v_add_f64 v[112:113], v[80:81], v[149:150]
	v_add_f64 v[133:134], v[94:95], -v[139:140]
	v_add_f64 v[80:81], v[127:128], v[137:138]
	v_add_f64 v[185:186], v[82:83], v[100:101]
	;; [unrolled: 1-line block ×12, first 2 shown]
	v_fma_f64 v[88:89], v[114:115], s[16:17], -v[165:166]
	v_mul_f64 v[167:168], v[125:126], s[28:29]
	v_add_f64 v[127:128], v[131:132], v[137:138]
	v_add_f64 v[131:132], v[131:132], -v[137:138]
	v_mul_f64 v[169:170], v[133:134], s[34:35]
	v_add_f64 v[80:81], v[80:81], v[141:142]
	v_add_f64 v[141:142], v[98:99], -v[145:146]
	v_add_f64 v[82:83], v[82:83], v[147:148]
	v_add_f64 v[90:91], v[88:89], v[175:176]
	v_fma_f64 v[147:148], v[129:130], s[16:17], v[167:168]
	v_add_f64 v[137:138], v[94:95], v[139:140]
	v_mul_f64 v[94:95], v[131:132], s[34:35]
	v_fma_f64 v[149:150], v[127:128], s[4:5], -v[169:170]
	v_add_f64 v[139:140], v[96:97], -v[135:136]
	v_add_f64 v[135:136], v[96:97], v[135:136]
	v_mul_f64 v[96:97], v[141:142], s[20:21]
	v_add_f64 v[151:152], v[179:180], -v[78:79]
	v_add_f64 v[88:89], v[80:81], v[74:75]
	v_add_f64 v[74:75], v[147:148], v[185:186]
	v_fma_f64 v[80:81], v[137:138], s[4:5], v[94:95]
	v_add_f64 v[147:148], v[98:99], v[145:146]
	v_mul_f64 v[98:99], v[139:140], s[20:21]
	v_add_f64 v[171:172], v[149:150], v[90:91]
	v_fma_f64 v[173:174], v[135:136], s[18:19], -v[96:97]
	v_add_f64 v[145:146], v[177:178], v[76:77]
	v_mul_f64 v[175:176], v[151:152], s[26:27]
	v_add_f64 v[149:150], v[177:178], -v[76:77]
	v_add_f64 v[177:178], v[92:93], -v[72:73]
	v_add_f64 v[74:75], v[80:81], v[74:75]
	v_fma_f64 v[76:77], v[147:148], s[18:19], v[98:99]
	v_add_f64 v[90:91], v[82:83], v[159:160]
	v_add_f64 v[80:81], v[173:174], v[171:172]
	;; [unrolled: 1-line block ×3, first 2 shown]
	v_fma_f64 v[78:79], v[145:146], s[24:25], -v[175:176]
	v_mul_f64 v[82:83], v[149:150], s[26:27]
	v_add_f64 v[171:172], v[181:182], v[183:184]
	v_mul_f64 v[173:174], v[177:178], s[36:37]
	v_add_f64 v[74:75], v[76:77], v[74:75]
	v_add_f64 v[179:180], v[181:182], -v[183:184]
	v_fma_f64 v[76:77], v[114:115], s[16:17], v[165:166]
	v_fma_f64 v[165:166], v[129:130], s[16:17], -v[167:168]
	v_add_f64 v[78:79], v[78:79], v[80:81]
	v_fma_f64 v[80:81], v[159:160], s[24:25], v[82:83]
	v_add_f64 v[167:168], v[92:93], v[72:73]
	v_fma_f64 v[72:73], v[171:172], s[30:31], -v[173:174]
	v_mul_f64 v[181:182], v[122:123], s[20:21]
	v_fma_f64 v[169:170], v[127:128], s[4:5], v[169:170]
	v_add_f64 v[76:77], v[76:77], v[187:188]
	v_add_f64 v[165:166], v[165:166], v[189:190]
	v_fma_f64 v[94:95], v[137:138], s[4:5], -v[94:95]
	v_add_f64 v[74:75], v[80:81], v[74:75]
	v_mul_f64 v[80:81], v[133:134], s[36:37]
	v_add_f64 v[92:93], v[72:73], v[78:79]
	v_fma_f64 v[72:73], v[114:115], s[18:19], -v[181:182]
	v_mul_f64 v[78:79], v[125:126], s[20:21]
	v_mul_f64 v[183:184], v[179:180], s[36:37]
	v_add_f64 v[76:77], v[169:170], v[76:77]
	v_add_f64 v[94:95], v[94:95], v[165:166]
	v_fma_f64 v[96:97], v[135:136], s[18:19], v[96:97]
	v_fma_f64 v[98:99], v[147:148], s[18:19], -v[98:99]
	v_fma_f64 v[169:170], v[127:128], s[30:31], -v[80:81]
	v_add_f64 v[72:73], v[72:73], v[191:192]
	v_fma_f64 v[165:166], v[129:130], s[18:19], v[78:79]
	v_mul_f64 v[187:188], v[131:132], s[36:37]
	v_mul_f64 v[189:190], v[141:142], s[40:41]
	v_fma_f64 v[185:186], v[167:168], s[30:31], v[183:184]
	v_add_f64 v[76:77], v[96:97], v[76:77]
	v_add_f64 v[96:97], v[98:99], v[94:95]
	v_fma_f64 v[98:99], v[145:146], s[24:25], v[175:176]
	v_fma_f64 v[82:83], v[159:160], s[24:25], -v[82:83]
	v_add_f64 v[161:162], v[165:166], v[161:162]
	v_add_f64 v[72:73], v[169:170], v[72:73]
	v_fma_f64 v[165:166], v[137:138], s[30:31], v[187:188]
	v_fma_f64 v[169:170], v[135:136], s[24:25], -v[189:190]
	v_mul_f64 v[175:176], v[139:140], s[40:41]
	v_mul_f64 v[191:192], v[151:152], s[38:39]
	v_add_f64 v[94:95], v[185:186], v[74:75]
	v_add_f64 v[74:75], v[98:99], v[76:77]
	;; [unrolled: 1-line block ×3, first 2 shown]
	v_fma_f64 v[82:83], v[171:172], s[30:31], v[173:174]
	v_add_f64 v[96:97], v[165:166], v[161:162]
	v_add_f64 v[98:99], v[169:170], v[72:73]
	v_fma_f64 v[161:162], v[147:148], s[24:25], v[175:176]
	v_fma_f64 v[165:166], v[145:146], s[4:5], -v[191:192]
	v_mul_f64 v[169:170], v[149:150], s[38:39]
	s_mov_b32 s23, 0x3fddbe06
	v_mul_f64 v[173:174], v[177:178], s[22:23]
	v_fma_f64 v[183:184], v[167:168], s[30:31], -v[183:184]
	v_fma_f64 v[181:182], v[114:115], s[18:19], v[181:182]
	v_fma_f64 v[78:79], v[129:130], s[18:19], -v[78:79]
	v_add_f64 v[72:73], v[82:83], v[74:75]
	v_add_f64 v[82:83], v[161:162], v[96:97]
	;; [unrolled: 1-line block ×3, first 2 shown]
	v_fma_f64 v[98:99], v[159:160], s[4:5], v[169:170]
	v_fma_f64 v[161:162], v[171:172], s[14:15], -v[173:174]
	v_fma_f64 v[80:81], v[127:128], s[30:31], v[80:81]
	v_add_f64 v[181:182], v[181:182], v[193:194]
	v_add_f64 v[78:79], v[78:79], v[195:196]
	v_fma_f64 v[185:186], v[137:138], s[30:31], -v[187:188]
	v_add_f64 v[74:75], v[183:184], v[76:77]
	v_mul_f64 v[183:184], v[125:126], s[36:37]
	v_add_f64 v[76:77], v[98:99], v[82:83]
	v_mul_f64 v[82:83], v[122:123], s[36:37]
	v_mul_f64 v[165:166], v[179:180], s[22:23]
	v_add_f64 v[96:97], v[161:162], v[96:97]
	v_add_f64 v[80:81], v[80:81], v[181:182]
	;; [unrolled: 1-line block ×3, first 2 shown]
	v_fma_f64 v[161:162], v[135:136], s[24:25], v[189:190]
	v_fma_f64 v[175:176], v[147:148], s[24:25], -v[175:176]
	v_fma_f64 v[185:186], v[129:130], s[30:31], v[183:184]
	v_fma_f64 v[181:182], v[114:115], s[30:31], -v[82:83]
	v_mul_f64 v[187:188], v[133:134], s[42:43]
	v_mul_f64 v[189:190], v[131:132], s[42:43]
	v_fma_f64 v[98:99], v[167:168], s[14:15], v[165:166]
	v_fma_f64 v[169:170], v[159:160], s[4:5], -v[169:170]
	v_add_f64 v[80:81], v[161:162], v[80:81]
	v_add_f64 v[78:79], v[175:176], v[78:79]
	v_fma_f64 v[161:162], v[145:146], s[4:5], v[191:192]
	v_add_f64 v[175:176], v[181:182], v[197:198]
	v_add_f64 v[163:164], v[185:186], v[163:164]
	v_fma_f64 v[181:182], v[127:128], s[18:19], -v[187:188]
	v_fma_f64 v[185:186], v[137:138], s[18:19], v[189:190]
	v_mul_f64 v[191:192], v[141:142], s[22:23]
	v_mul_f64 v[193:194], v[139:140], s[22:23]
	v_add_f64 v[98:99], v[98:99], v[76:77]
	v_add_f64 v[76:77], v[161:162], v[80:81]
	;; [unrolled: 1-line block ×3, first 2 shown]
	v_fma_f64 v[80:81], v[171:172], s[14:15], v[173:174]
	v_add_f64 v[161:162], v[181:182], v[175:176]
	v_add_f64 v[163:164], v[185:186], v[163:164]
	v_fma_f64 v[169:170], v[135:136], s[14:15], -v[191:192]
	v_fma_f64 v[173:174], v[147:148], s[14:15], v[193:194]
	v_mul_f64 v[175:176], v[151:152], s[28:29]
	v_mul_f64 v[181:182], v[149:150], s[28:29]
	v_fma_f64 v[165:166], v[167:168], s[14:15], -v[165:166]
	v_add_f64 v[76:77], v[80:81], v[76:77]
	v_fma_f64 v[80:81], v[114:115], s[30:31], v[82:83]
	v_fma_f64 v[82:83], v[129:130], s[30:31], -v[183:184]
	v_add_f64 v[161:162], v[169:170], v[161:162]
	v_add_f64 v[163:164], v[173:174], v[163:164]
	v_fma_f64 v[169:170], v[145:146], s[16:17], -v[175:176]
	v_fma_f64 v[173:174], v[159:160], s[16:17], v[181:182]
	v_mul_f64 v[183:184], v[177:178], s[26:27]
	v_add_f64 v[78:79], v[165:166], v[78:79]
	v_add_f64 v[80:81], v[80:81], v[104:105]
	;; [unrolled: 1-line block ×3, first 2 shown]
	v_fma_f64 v[104:105], v[127:128], s[18:19], v[187:188]
	v_fma_f64 v[153:154], v[137:138], s[18:19], -v[189:190]
	v_add_f64 v[161:162], v[169:170], v[161:162]
	v_add_f64 v[163:164], v[173:174], v[163:164]
	v_fma_f64 v[165:166], v[171:172], s[24:25], -v[183:184]
	v_mul_f64 v[173:174], v[122:123], s[40:41]
	v_mul_f64 v[185:186], v[125:126], s[40:41]
	;; [unrolled: 1-line block ×3, first 2 shown]
	v_add_f64 v[80:81], v[104:105], v[80:81]
	v_add_f64 v[82:83], v[153:154], v[82:83]
	v_fma_f64 v[153:154], v[135:136], s[14:15], v[191:192]
	v_fma_f64 v[187:188], v[147:148], s[14:15], -v[193:194]
	v_add_f64 v[104:105], v[165:166], v[161:162]
	v_fma_f64 v[165:166], v[114:115], s[24:25], -v[173:174]
	v_fma_f64 v[189:190], v[129:130], s[24:25], v[185:186]
	v_mul_f64 v[191:192], v[133:134], s[22:23]
	v_mul_f64 v[193:194], v[131:132], s[22:23]
	v_fma_f64 v[161:162], v[167:168], s[24:25], v[169:170]
	v_add_f64 v[80:81], v[153:154], v[80:81]
	v_add_f64 v[82:83], v[187:188], v[82:83]
	v_fma_f64 v[153:154], v[145:146], s[16:17], v[175:176]
	v_fma_f64 v[175:176], v[159:160], s[16:17], -v[181:182]
	v_add_f64 v[106:107], v[165:166], v[106:107]
	v_add_f64 v[143:144], v[189:190], v[143:144]
	v_fma_f64 v[165:166], v[127:128], s[14:15], -v[191:192]
	v_fma_f64 v[181:182], v[137:138], s[14:15], v[193:194]
	v_mul_f64 v[187:188], v[141:142], s[34:35]
	v_mul_f64 v[189:190], v[139:140], s[34:35]
	s_mov_b32 s37, 0x3fcea1e5
	v_add_f64 v[80:81], v[153:154], v[80:81]
	v_add_f64 v[82:83], v[175:176], v[82:83]
	v_fma_f64 v[153:154], v[171:172], s[24:25], v[183:184]
	v_fma_f64 v[169:170], v[167:168], s[24:25], -v[169:170]
	v_add_f64 v[165:166], v[165:166], v[106:107]
	v_add_f64 v[143:144], v[181:182], v[143:144]
	v_fma_f64 v[175:176], v[135:136], s[4:5], -v[187:188]
	v_fma_f64 v[181:182], v[147:148], s[4:5], v[189:190]
	v_mul_f64 v[183:184], v[151:152], s[36:37]
	v_add_f64 v[106:107], v[161:162], v[163:164]
	v_mul_f64 v[161:162], v[149:150], s[36:37]
	v_fma_f64 v[163:164], v[114:115], s[24:25], v[173:174]
	s_mov_b32 s35, 0x3fea55e2
	s_mov_b32 s34, s28
	v_add_f64 v[80:81], v[153:154], v[80:81]
	v_add_f64 v[82:83], v[169:170], v[82:83]
	;; [unrolled: 1-line block ×4, first 2 shown]
	v_fma_f64 v[165:166], v[145:146], s[30:31], -v[183:184]
	v_fma_f64 v[169:170], v[129:130], s[24:25], -v[185:186]
	v_fma_f64 v[173:174], v[159:160], s[30:31], v[161:162]
	v_add_f64 v[102:103], v[163:164], v[102:103]
	v_fma_f64 v[163:164], v[127:128], s[14:15], v[191:192]
	v_mul_f64 v[175:176], v[177:178], s[34:35]
	v_mul_f64 v[181:182], v[179:180], s[34:35]
	;; [unrolled: 1-line block ×3, first 2 shown]
	v_add_f64 v[153:154], v[165:166], v[153:154]
	v_add_f64 v[100:101], v[169:170], v[100:101]
	v_fma_f64 v[169:170], v[137:138], s[14:15], -v[193:194]
	v_add_f64 v[143:144], v[173:174], v[143:144]
	v_add_f64 v[102:103], v[163:164], v[102:103]
	v_fma_f64 v[163:164], v[135:136], s[4:5], v[187:188]
	v_fma_f64 v[165:166], v[171:172], s[16:17], -v[175:176]
	v_fma_f64 v[173:174], v[167:168], s[16:17], v[181:182]
	v_fma_f64 v[187:188], v[147:148], s[4:5], -v[189:190]
	v_mul_f64 v[189:190], v[125:126], s[38:39]
	v_add_f64 v[169:170], v[169:170], v[100:101]
	v_fma_f64 v[183:184], v[145:146], s[30:31], v[183:184]
	v_fma_f64 v[175:176], v[171:172], s[16:17], v[175:176]
	v_add_f64 v[163:164], v[163:164], v[102:103]
	v_add_f64 v[100:101], v[165:166], v[153:154]
	;; [unrolled: 1-line block ×3, first 2 shown]
	v_fma_f64 v[143:144], v[114:115], s[4:5], -v[185:186]
	v_mul_f64 v[153:154], v[133:134], s[28:29]
	v_add_f64 v[165:166], v[187:188], v[169:170]
	v_fma_f64 v[169:170], v[129:130], s[4:5], v[189:190]
	v_fma_f64 v[161:162], v[159:160], s[30:31], -v[161:162]
	v_add_f64 v[163:164], v[183:184], v[163:164]
	v_mul_f64 v[183:184], v[141:142], s[36:37]
	v_fma_f64 v[185:186], v[114:115], s[4:5], v[185:186]
	v_add_f64 v[86:87], v[143:144], v[86:87]
	v_fma_f64 v[143:144], v[127:128], s[16:17], -v[153:154]
	v_mul_f64 v[122:123], v[122:123], s[22:23]
	v_add_f64 v[169:170], v[169:170], v[84:85]
	v_add_f64 v[161:162], v[161:162], v[165:166]
	;; [unrolled: 1-line block ×3, first 2 shown]
	v_fma_f64 v[163:164], v[135:136], s[30:31], -v[183:184]
	v_mul_f64 v[175:176], v[151:152], s[22:23]
	v_fma_f64 v[165:166], v[167:168], s[16:17], -v[181:182]
	v_add_f64 v[143:144], v[143:144], v[86:87]
	v_mul_f64 v[173:174], v[131:132], s[28:29]
	v_add_f64 v[120:121], v[185:186], v[120:121]
	v_fma_f64 v[153:154], v[127:128], s[16:17], v[153:154]
	v_mul_f64 v[125:126], v[125:126], s[22:23]
	v_mul_f64 v[133:134], v[133:134], s[26:27]
	;; [unrolled: 1-line block ×3, first 2 shown]
	v_add_f64 v[86:87], v[165:166], v[161:162]
	v_add_f64 v[143:144], v[163:164], v[143:144]
	v_fma_f64 v[163:164], v[145:146], s[14:15], -v[175:176]
	v_fma_f64 v[165:166], v[129:130], s[4:5], -v[189:190]
	v_fma_f64 v[187:188], v[137:138], s[16:17], v[173:174]
	v_add_f64 v[120:121], v[153:154], v[120:121]
	v_fma_f64 v[153:154], v[135:136], s[30:31], v[183:184]
	v_mul_f64 v[141:142], v[141:142], s[34:35]
	v_mul_f64 v[191:192], v[139:140], s[36:37]
	;; [unrolled: 1-line block ×3, first 2 shown]
	v_add_f64 v[143:144], v[163:164], v[143:144]
	v_fma_f64 v[163:164], v[114:115], s[14:15], -v[122:123]
	v_add_f64 v[118:119], v[165:166], v[118:119]
	v_fma_f64 v[165:166], v[137:138], s[16:17], -v[173:174]
	v_fma_f64 v[173:174], v[127:128], s[24:25], -v[133:134]
	v_fma_f64 v[114:115], v[114:115], s[14:15], v[122:123]
	v_add_f64 v[120:121], v[153:154], v[120:121]
	v_fma_f64 v[153:154], v[137:138], s[24:25], v[131:132]
	v_fma_f64 v[122:123], v[145:146], s[14:15], v[175:176]
	v_add_f64 v[116:117], v[163:164], v[116:117]
	v_fma_f64 v[163:164], v[129:130], s[14:15], v[125:126]
	v_fma_f64 v[125:126], v[129:130], s[14:15], -v[125:126]
	v_fma_f64 v[129:130], v[135:136], s[16:17], -v[141:142]
	v_add_f64 v[112:113], v[114:115], v[112:113]
	v_mul_f64 v[114:115], v[139:140], s[34:35]
	v_fma_f64 v[127:128], v[127:128], s[24:25], v[133:134]
	v_mul_f64 v[133:134], v[151:152], s[20:21]
	v_add_f64 v[116:117], v[173:174], v[116:117]
	v_add_f64 v[110:111], v[163:164], v[110:111]
	;; [unrolled: 1-line block ×3, first 2 shown]
	v_fma_f64 v[125:126], v[137:138], s[24:25], -v[131:132]
	v_mul_f64 v[131:132], v[149:150], s[20:21]
	v_add_f64 v[169:170], v[187:188], v[169:170]
	v_fma_f64 v[181:182], v[147:148], s[30:31], v[191:192]
	v_add_f64 v[118:119], v[165:166], v[118:119]
	v_add_f64 v[116:117], v[129:130], v[116:117]
	;; [unrolled: 1-line block ×3, first 2 shown]
	v_fma_f64 v[129:130], v[147:148], s[16:17], v[114:115]
	v_fma_f64 v[165:166], v[147:148], s[30:31], -v[191:192]
	v_add_f64 v[112:113], v[127:128], v[112:113]
	v_fma_f64 v[127:128], v[145:146], s[18:19], -v[133:134]
	v_fma_f64 v[135:136], v[135:136], s[16:17], v[141:142]
	v_add_f64 v[120:121], v[122:123], v[120:121]
	v_add_f64 v[108:109], v[125:126], v[108:109]
	v_fma_f64 v[114:115], v[147:148], s[16:17], -v[114:115]
	v_add_f64 v[110:111], v[129:130], v[110:111]
	v_fma_f64 v[122:123], v[159:160], s[18:19], v[131:132]
	v_add_f64 v[169:170], v[181:182], v[169:170]
	v_fma_f64 v[181:182], v[159:160], s[14:15], v[161:162]
	v_add_f64 v[118:119], v[165:166], v[118:119]
	v_fma_f64 v[139:140], v[159:160], s[14:15], -v[161:162]
	v_add_f64 v[116:117], v[127:128], v[116:117]
	v_add_f64 v[112:113], v[135:136], v[112:113]
	v_fma_f64 v[125:126], v[145:146], s[18:19], v[133:134]
	v_mul_f64 v[127:128], v[177:178], s[20:21]
	v_add_f64 v[108:109], v[114:115], v[108:109]
	v_mul_f64 v[114:115], v[179:180], s[20:21]
	v_fma_f64 v[129:130], v[159:160], s[18:19], -v[131:132]
	v_mul_f64 v[131:132], v[177:178], s[38:39]
	v_add_f64 v[133:134], v[122:123], v[110:111]
	v_mul_f64 v[110:111], v[179:180], s[38:39]
	v_add_f64 v[169:170], v[181:182], v[169:170]
	v_add_f64 v[118:119], v[139:140], v[118:119]
	;; [unrolled: 1-line block ×3, first 2 shown]
	v_fma_f64 v[112:113], v[171:172], s[18:19], -v[127:128]
	v_fma_f64 v[122:123], v[171:172], s[18:19], v[127:128]
	v_fma_f64 v[127:128], v[167:168], s[18:19], v[114:115]
	v_add_f64 v[129:130], v[129:130], v[108:109]
	v_fma_f64 v[114:115], v[167:168], s[18:19], -v[114:115]
	v_fma_f64 v[135:136], v[171:172], s[4:5], -v[131:132]
	v_fma_f64 v[137:138], v[167:168], s[4:5], v[110:111]
	v_fma_f64 v[131:132], v[171:172], s[4:5], v[131:132]
	v_fma_f64 v[139:140], v[167:168], s[4:5], -v[110:111]
	v_add_f64 v[108:109], v[112:113], v[143:144]
	v_add_f64 v[110:111], v[127:128], v[169:170]
	;; [unrolled: 1-line block ×8, first 2 shown]
	s_and_saveexec_b64 s[4:5], s[2:3]
	s_cbranch_execz .LBB0_11
; %bb.10:
	ds_write_b128 v155, v[88:91]
	ds_write_b128 v155, v[92:95] offset:1008
	ds_write_b128 v155, v[96:99] offset:2016
	;; [unrolled: 1-line block ×12, first 2 shown]
.LBB0_11:
	s_or_b64 exec, exec, s[4:5]
	s_waitcnt lgkmcnt(0)
	s_barrier
	s_and_saveexec_b64 s[14:15], s[0:1]
	s_cbranch_execz .LBB0_13
; %bb.12:
	v_mov_b32_e32 v125, s13
	v_add_co_u32_e32 v149, vcc, s12, v155
	v_addc_co_u32_e32 v154, vcc, 0, v125, vcc
	s_movk_i32 s4, 0x4000
	v_add_co_u32_e32 v129, vcc, 0x3330, v149
	v_add_co_u32_e64 v163, s[4:5], s4, v149
	v_addc_co_u32_e32 v130, vcc, 0, v154, vcc
	v_addc_co_u32_e64 v164, s[4:5], 0, v154, s[4:5]
	global_load_dwordx4 v[125:128], v[129:130], off offset:1456
	s_nop 0
	global_load_dwordx4 v[129:132], v[129:130], off offset:2912
	s_movk_i32 s4, 0x5000
	v_add_co_u32_e64 v145, s[4:5], s4, v149
	global_load_dwordx4 v[133:136], v[163:164], off offset:2544
	global_load_dwordx4 v[137:140], v[163:164], off offset:4000
	v_addc_co_u32_e64 v146, s[4:5], 0, v154, s[4:5]
	s_movk_i32 s4, 0x6000
	v_add_co_u32_e32 v153, vcc, 0x3000, v149
	global_load_dwordx4 v[141:144], v[145:146], off offset:1360
	s_nop 0
	global_load_dwordx4 v[145:148], v[145:146], off offset:2816
	v_add_co_u32_e64 v149, s[4:5], s4, v149
	v_addc_co_u32_e64 v150, s[4:5], 0, v154, s[4:5]
	v_addc_co_u32_e32 v154, vcc, 0, v154, vcc
	global_load_dwordx4 v[149:152], v[149:150], off offset:176
	s_nop 0
	global_load_dwordx4 v[159:162], v[153:154], off offset:816
	s_nop 0
	global_load_dwordx4 v[163:166], v[163:164], off offset:1088
	ds_read_b128 v[167:170], v155
	ds_read_b128 v[171:174], v155 offset:1456
	ds_read_b128 v[175:178], v155 offset:2912
	;; [unrolled: 1-line block ×8, first 2 shown]
	s_waitcnt vmcnt(8) lgkmcnt(7)
	v_mul_f64 v[153:154], v[173:174], v[127:128]
	v_mul_f64 v[127:128], v[171:172], v[127:128]
	s_waitcnt vmcnt(7) lgkmcnt(6)
	v_mul_f64 v[203:204], v[177:178], v[131:132]
	v_mul_f64 v[131:132], v[175:176], v[131:132]
	;; [unrolled: 3-line block ×6, first 2 shown]
	s_waitcnt vmcnt(1)
	v_mul_f64 v[217:218], v[169:170], v[161:162]
	v_mul_f64 v[161:162], v[167:168], v[161:162]
	s_waitcnt vmcnt(0)
	v_mul_f64 v[219:220], v[181:182], v[165:166]
	v_mul_f64 v[221:222], v[179:180], v[165:166]
	s_waitcnt lgkmcnt(0)
	v_mul_f64 v[213:214], v[201:202], v[151:152]
	v_mul_f64 v[215:216], v[199:200], v[151:152]
	v_fma_f64 v[151:152], v[171:172], v[125:126], -v[153:154]
	v_fma_f64 v[153:154], v[173:174], v[125:126], v[127:128]
	v_fma_f64 v[125:126], v[175:176], v[129:130], -v[203:204]
	v_fma_f64 v[127:128], v[177:178], v[129:130], v[131:132]
	v_fma_f64 v[129:130], v[183:184], v[133:134], -v[205:206]
	v_fma_f64 v[131:132], v[185:186], v[133:134], v[135:136]
	v_fma_f64 v[133:134], v[187:188], v[137:138], -v[207:208]
	v_fma_f64 v[135:136], v[189:190], v[137:138], v[139:140]
	v_fma_f64 v[137:138], v[191:192], v[141:142], -v[209:210]
	v_fma_f64 v[139:140], v[193:194], v[141:142], v[143:144]
	v_fma_f64 v[141:142], v[195:196], v[145:146], -v[211:212]
	v_fma_f64 v[143:144], v[197:198], v[145:146], v[147:148]
	v_fma_f64 v[165:166], v[167:168], v[159:160], -v[217:218]
	v_fma_f64 v[167:168], v[169:170], v[159:160], v[161:162]
	v_fma_f64 v[159:160], v[179:180], v[163:164], -v[219:220]
	v_fma_f64 v[161:162], v[181:182], v[163:164], v[221:222]
	v_fma_f64 v[145:146], v[199:200], v[149:150], -v[213:214]
	v_fma_f64 v[147:148], v[201:202], v[149:150], v[215:216]
	ds_write_b128 v155, v[151:154] offset:1456
	ds_write_b128 v155, v[125:128] offset:2912
	;; [unrolled: 1-line block ×6, first 2 shown]
	ds_write_b128 v155, v[165:168]
	ds_write_b128 v155, v[159:162] offset:4368
	ds_write_b128 v155, v[145:148] offset:11648
.LBB0_13:
	s_or_b64 exec, exec, s[14:15]
	s_waitcnt lgkmcnt(0)
	s_barrier
	s_and_saveexec_b64 s[4:5], s[0:1]
	s_cbranch_execz .LBB0_15
; %bb.14:
	ds_read_b128 v[88:91], v155
	ds_read_b128 v[92:95], v155 offset:1456
	ds_read_b128 v[96:99], v155 offset:2912
	;; [unrolled: 1-line block ×8, first 2 shown]
.LBB0_15:
	s_or_b64 exec, exec, s[4:5]
	s_waitcnt lgkmcnt(0)
	v_add_f64 v[131:132], v[92:93], -v[120:121]
	v_add_f64 v[127:128], v[94:95], -v[122:123]
	s_mov_b32 s19, 0x3fe491b7
	s_mov_b32 s18, 0x523c161c
	v_add_f64 v[125:126], v[92:93], v[120:121]
	v_add_f64 v[129:130], v[96:97], -v[116:117]
	v_add_f64 v[120:121], v[98:99], -v[118:119]
	s_mov_b32 s20, 0x8c811c17
	v_mul_f64 v[92:93], v[131:132], s[18:19]
	v_mul_f64 v[133:134], v[127:128], s[18:19]
	s_mov_b32 s21, 0x3fef838b
	v_add_f64 v[122:123], v[94:95], v[122:123]
	v_add_f64 v[147:148], v[104:105], -v[112:113]
	v_add_f64 v[143:144], v[106:107], -v[114:115]
	v_add_f64 v[141:142], v[98:99], v[118:119]
	v_add_f64 v[137:138], v[100:101], -v[108:109]
	v_fma_f64 v[92:93], v[129:130], s[20:21], v[92:93]
	v_fma_f64 v[94:95], v[120:121], s[20:21], v[133:134]
	v_add_f64 v[118:119], v[102:103], -v[110:111]
	v_add_f64 v[139:140], v[100:101], v[108:109]
	v_add_f64 v[145:146], v[102:103], v[110:111]
	s_mov_b32 s4, 0xe8584cab
	s_mov_b32 s26, 0xa2cf5039
	s_mov_b32 s5, 0x3febb67a
	s_mov_b32 s27, 0x3fe8836f
	v_add_f64 v[135:136], v[96:97], v[116:117]
	v_add_f64 v[116:117], v[104:105], v[112:113]
	;; [unrolled: 1-line block ×3, first 2 shown]
	v_fma_f64 v[92:93], v[147:148], s[4:5], v[92:93]
	v_fma_f64 v[94:95], v[143:144], s[4:5], v[94:95]
	;; [unrolled: 1-line block ×4, first 2 shown]
	v_mul_f64 v[104:105], v[137:138], s[18:19]
	v_mul_f64 v[106:107], v[118:119], s[18:19]
	v_fma_f64 v[112:113], v[139:140], s[26:27], v[88:89]
	v_fma_f64 v[114:115], v[145:146], s[26:27], v[90:91]
	s_mov_b32 s16, 0x748a0bf8
	s_mov_b32 s24, 0x7e0b738b
	;; [unrolled: 1-line block ×4, first 2 shown]
	v_fma_f64 v[96:97], v[135:136], s[24:25], v[96:97]
	v_fma_f64 v[98:99], v[141:142], s[24:25], v[98:99]
	;; [unrolled: 1-line block ×4, first 2 shown]
	v_fma_f64 v[94:95], v[131:132], s[20:21], -v[104:105]
	v_fma_f64 v[104:105], v[127:128], s[20:21], -v[106:107]
	v_fma_f64 v[106:107], v[125:126], s[24:25], v[112:113]
	v_fma_f64 v[112:113], v[122:123], s[24:25], v[114:115]
	s_mov_b32 s23, 0xbfebb67a
	s_mov_b32 s22, s4
	v_fma_f64 v[96:97], v[116:117], -0.5, v[96:97]
	v_fma_f64 v[98:99], v[133:134], -0.5, v[98:99]
	v_fma_f64 v[94:95], v[147:148], s[22:23], v[94:95]
	v_fma_f64 v[104:105], v[143:144], s[22:23], v[104:105]
	v_fma_f64 v[106:107], v[116:117], -0.5, v[106:107]
	v_fma_f64 v[112:113], v[133:134], -0.5, v[112:113]
	s_mov_b32 s28, 0x42522d1b
	s_mov_b32 s29, 0xbfee11f6
	v_fma_f64 v[96:97], v[139:140], s[28:29], v[96:97]
	v_fma_f64 v[98:99], v[145:146], s[28:29], v[98:99]
	;; [unrolled: 1-line block ×6, first 2 shown]
	s_barrier
	v_add_f64 v[112:113], v[96:97], -v[92:93]
	v_add_f64 v[114:115], v[149:150], v[98:99]
	v_add_f64 v[104:105], v[94:95], -v[153:154]
	v_add_f64 v[106:107], v[151:152], v[106:107]
	v_fma_f64 v[92:93], v[92:93], 2.0, v[112:113]
	v_fma_f64 v[94:95], v[149:150], -2.0, v[114:115]
	v_fma_f64 v[96:97], v[153:154], 2.0, v[104:105]
	v_fma_f64 v[98:99], v[151:152], -2.0, v[106:107]
	s_and_saveexec_b64 s[14:15], s[0:1]
	s_cbranch_execz .LBB0_17
; %bb.16:
	v_mul_f64 v[149:150], v[137:138], s[20:21]
	v_fma_f64 v[151:152], v[141:142], s[26:27], v[90:91]
	v_mul_f64 v[159:160], v[118:119], s[20:21]
	v_fma_f64 v[161:162], v[135:136], s[26:27], v[88:89]
	s_mov_b32 s19, 0xbfe491b7
	v_mul_f64 v[147:148], v[147:148], s[4:5]
	v_mul_f64 v[153:154], v[133:134], 0.5
	v_add_f64 v[141:142], v[141:142], v[122:123]
	v_fma_f64 v[149:150], v[129:130], s[18:19], -v[149:150]
	v_fma_f64 v[151:152], v[145:146], s[24:25], v[151:152]
	v_add_f64 v[135:136], v[135:136], v[125:126]
	v_mul_f64 v[143:144], v[143:144], s[4:5]
	v_mul_f64 v[163:164], v[116:117], 0.5
	v_fma_f64 v[159:160], v[120:121], s[18:19], -v[159:160]
	v_fma_f64 v[161:162], v[139:140], s[24:25], v[161:162]
	v_add_f64 v[137:138], v[137:138], v[131:132]
	v_add_f64 v[147:148], v[147:148], v[149:150]
	v_add_f64 v[149:150], v[151:152], -v[153:154]
	v_add_f64 v[151:152], v[90:91], v[133:134]
	v_add_f64 v[133:134], v[133:134], v[141:142]
	;; [unrolled: 1-line block ×4, first 2 shown]
	v_add_f64 v[159:160], v[161:162], -v[163:164]
	v_add_f64 v[141:142], v[145:146], v[141:142]
	v_add_f64 v[116:117], v[88:89], v[116:117]
	;; [unrolled: 1-line block ×6, first 2 shown]
	v_fma_f64 v[131:132], v[131:132], s[16:17], v[147:148]
	v_fma_f64 v[122:123], v[122:123], s[28:29], v[149:150]
	;; [unrolled: 1-line block ×4, first 2 shown]
	v_add_f64 v[129:130], v[137:138], -v[129:130]
	v_fma_f64 v[133:134], v[141:142], -0.5, v[151:152]
	v_add_f64 v[118:119], v[118:119], -v[120:121]
	v_fma_f64 v[116:117], v[135:136], -0.5, v[116:117]
	v_add_f64 v[120:121], v[110:111], v[102:103]
	v_add_f64 v[135:136], v[108:109], v[100:101]
	;; [unrolled: 1-line block ×3, first 2 shown]
	v_add_f64 v[100:101], v[125:126], -v[127:128]
	v_mul_f64 v[122:123], v[129:130], s[4:5]
	v_fma_f64 v[110:111], v[129:130], s[4:5], v[133:134]
	v_mul_f64 v[125:126], v[118:119], s[4:5]
	v_fma_f64 v[108:109], v[118:119], s[22:23], v[116:117]
	v_add_f64 v[90:91], v[90:91], v[120:121]
	v_add_f64 v[88:89], v[88:89], v[135:136]
	v_fma_f64 v[118:119], v[131:132], -2.0, v[102:103]
	v_fma_f64 v[116:117], v[127:128], 2.0, v[100:101]
	v_fma_f64 v[122:123], v[122:123], -2.0, v[110:111]
	v_fma_f64 v[120:121], v[125:126], 2.0, v[108:109]
	v_lshlrev_b32_e32 v125, 4, v157
	ds_write_b128 v125, v[88:91]
	ds_write_b128 v125, v[112:115] offset:16
	ds_write_b128 v125, v[104:107] offset:32
	;; [unrolled: 1-line block ×8, first 2 shown]
.LBB0_17:
	s_or_b64 exec, exec, s[14:15]
	s_waitcnt lgkmcnt(0)
	s_barrier
	ds_read_b128 v[88:91], v155 offset:1872
	ds_read_b128 v[100:103], v155 offset:3744
	ds_read_b128 v[104:107], v155 offset:5616
	ds_read_b128 v[108:111], v155
	ds_read_b128 v[112:115], v155 offset:7488
	ds_read_b128 v[116:119], v155 offset:9360
	;; [unrolled: 1-line block ×3, first 2 shown]
	s_mov_b32 s4, 0x37e14327
	s_waitcnt lgkmcnt(6)
	v_mul_f64 v[125:126], v[14:15], v[90:91]
	v_mul_f64 v[14:15], v[14:15], v[88:89]
	s_waitcnt lgkmcnt(5)
	v_mul_f64 v[127:128], v[10:11], v[102:103]
	v_mul_f64 v[10:11], v[10:11], v[100:101]
	s_mov_b32 s5, 0x3fe948f6
	s_mov_b32 s14, 0xe976ee23
	;; [unrolled: 1-line block ×4, first 2 shown]
	v_fma_f64 v[88:89], v[12:13], v[88:89], v[125:126]
	v_fma_f64 v[12:13], v[12:13], v[90:91], -v[14:15]
	v_fma_f64 v[14:15], v[8:9], v[100:101], v[127:128]
	v_fma_f64 v[8:9], v[8:9], v[102:103], -v[10:11]
	s_waitcnt lgkmcnt(0)
	v_mul_f64 v[10:11], v[18:19], v[122:123]
	v_mul_f64 v[18:19], v[18:19], v[120:121]
	;; [unrolled: 1-line block ×8, first 2 shown]
	v_fma_f64 v[10:11], v[16:17], v[120:121], v[10:11]
	v_fma_f64 v[16:17], v[16:17], v[122:123], -v[18:19]
	v_fma_f64 v[18:19], v[4:5], v[104:105], v[90:91]
	v_fma_f64 v[4:5], v[4:5], v[106:107], -v[6:7]
	;; [unrolled: 2-line block ×4, first 2 shown]
	v_add_f64 v[2:3], v[88:89], v[10:11]
	v_add_f64 v[90:91], v[12:13], v[16:17]
	v_add_f64 v[10:11], v[88:89], -v[10:11]
	v_add_f64 v[12:13], v[12:13], -v[16:17]
	v_add_f64 v[16:17], v[14:15], v[6:7]
	v_add_f64 v[88:89], v[8:9], v[20:21]
	v_add_f64 v[6:7], v[14:15], -v[6:7]
	v_add_f64 v[8:9], v[8:9], -v[20:21]
	;; [unrolled: 4-line block ×4, first 2 shown]
	v_add_f64 v[104:105], v[2:3], -v[14:15]
	v_add_f64 v[90:91], v[90:91], -v[20:21]
	;; [unrolled: 1-line block ×4, first 2 shown]
	v_add_f64 v[106:107], v[0:1], v[8:9]
	v_add_f64 v[2:3], v[18:19], v[6:7]
	v_add_f64 v[112:113], v[18:19], -v[6:7]
	v_add_f64 v[114:115], v[0:1], -v[8:9]
	v_add_f64 v[4:5], v[14:15], v[4:5]
	v_add_f64 v[14:15], v[20:21], v[22:23]
	v_add_f64 v[6:7], v[6:7], -v[10:11]
	v_add_f64 v[8:9], v[8:9], -v[12:13]
	v_mul_f64 v[22:23], v[104:105], s[4:5]
	v_mul_f64 v[90:91], v[90:91], s[4:5]
	s_mov_b32 s4, 0x36b3c0b5
	s_mov_b32 s5, 0x3fac98ee
	v_add_f64 v[20:21], v[12:13], -v[0:1]
	v_add_f64 v[12:13], v[106:107], v[12:13]
	v_mul_f64 v[104:105], v[16:17], s[4:5]
	v_mul_f64 v[106:107], v[88:89], s[4:5]
	v_add_f64 v[18:19], v[10:11], -v[18:19]
	v_add_f64 v[10:11], v[2:3], v[10:11]
	v_add_f64 v[0:1], v[108:109], v[4:5]
	;; [unrolled: 1-line block ×3, first 2 shown]
	v_mul_f64 v[108:109], v[112:113], s[14:15]
	v_mul_f64 v[110:111], v[114:115], s[14:15]
	s_mov_b32 s14, 0x429ad128
	s_mov_b32 s15, 0xbfebfeb5
	v_mul_f64 v[112:113], v[6:7], s[14:15]
	v_mul_f64 v[114:115], v[8:9], s[14:15]
	v_fma_f64 v[16:17], v[16:17], s[4:5], v[22:23]
	v_fma_f64 v[88:89], v[88:89], s[4:5], v[90:91]
	s_mov_b32 s5, 0x3fe77f67
	s_mov_b32 s4, 0x5476071b
	v_fma_f64 v[104:105], v[100:101], s[4:5], -v[104:105]
	v_fma_f64 v[106:107], v[102:103], s[4:5], -v[106:107]
	s_mov_b32 s5, 0xbfe77f67
	v_fma_f64 v[22:23], v[100:101], s[4:5], -v[22:23]
	v_fma_f64 v[90:91], v[102:103], s[4:5], -v[90:91]
	s_mov_b32 s5, 0xbfd5d0dc
	s_mov_b32 s4, 0xb247c609
	;; [unrolled: 1-line block ×3, first 2 shown]
	v_fma_f64 v[100:101], v[18:19], s[4:5], v[108:109]
	v_fma_f64 v[102:103], v[20:21], s[4:5], v[110:111]
	s_mov_b32 s5, 0x3fd5d0dc
	v_fma_f64 v[4:5], v[4:5], s[16:17], v[0:1]
	v_fma_f64 v[14:15], v[14:15], s[16:17], v[2:3]
	v_fma_f64 v[6:7], v[6:7], s[14:15], -v[108:109]
	v_fma_f64 v[8:9], v[8:9], s[14:15], -v[110:111]
	;; [unrolled: 1-line block ×4, first 2 shown]
	s_mov_b32 s4, 0x37c3f68c
	s_mov_b32 s5, 0xbfdc38aa
	v_add_f64 v[108:109], v[16:17], v[4:5]
	v_add_f64 v[110:111], v[88:89], v[14:15]
	;; [unrolled: 1-line block ×6, first 2 shown]
	v_fma_f64 v[102:103], v[12:13], s[4:5], v[102:103]
	v_fma_f64 v[100:101], v[10:11], s[4:5], v[100:101]
	;; [unrolled: 1-line block ×6, first 2 shown]
	s_barrier
	v_add_f64 v[4:5], v[102:103], v[108:109]
	v_add_f64 v[6:7], v[110:111], -v[100:101]
	v_add_f64 v[8:9], v[20:21], v[22:23]
	v_add_f64 v[10:11], v[90:91], -v[104:105]
	v_add_f64 v[12:13], v[16:17], -v[18:19]
	v_add_f64 v[14:15], v[106:107], v[88:89]
	v_add_f64 v[16:17], v[18:19], v[16:17]
	v_add_f64 v[18:19], v[88:89], -v[106:107]
	v_add_f64 v[20:21], v[22:23], -v[20:21]
	v_add_f64 v[22:23], v[104:105], v[90:91]
	v_add_f64 v[88:89], v[108:109], -v[102:103]
	v_add_f64 v[90:91], v[100:101], v[110:111]
	ds_write_b128 v158, v[0:3]
	ds_write_b128 v158, v[4:7] offset:144
	ds_write_b128 v158, v[8:11] offset:288
	;; [unrolled: 1-line block ×6, first 2 shown]
	s_waitcnt lgkmcnt(0)
	s_barrier
	s_and_saveexec_b64 s[4:5], s[2:3]
	s_cbranch_execz .LBB0_19
; %bb.18:
	ds_read_b128 v[0:3], v155
	ds_read_b128 v[4:7], v155 offset:1008
	ds_read_b128 v[8:11], v155 offset:2016
	;; [unrolled: 1-line block ×12, first 2 shown]
.LBB0_19:
	s_or_b64 exec, exec, s[4:5]
	s_and_saveexec_b64 s[4:5], s[2:3]
	s_cbranch_execz .LBB0_21
; %bb.20:
	s_waitcnt lgkmcnt(6)
	v_mul_f64 v[100:101], v[66:67], v[90:91]
	s_waitcnt lgkmcnt(5)
	v_mul_f64 v[102:103], v[70:71], v[98:99]
	v_mul_f64 v[104:105], v[66:67], v[88:89]
	s_waitcnt lgkmcnt(4)
	v_mul_f64 v[110:111], v[58:59], v[94:95]
	v_mul_f64 v[106:107], v[70:71], v[96:97]
	;; [unrolled: 1-line block ×3, first 2 shown]
	s_mov_b32 s18, 0x4bc48dbf
	s_mov_b32 s19, 0xbfcea1e5
	v_fma_f64 v[70:71], v[64:65], v[88:89], v[100:101]
	v_fma_f64 v[66:67], v[68:69], v[96:97], v[102:103]
	v_fma_f64 v[88:89], v[64:65], v[90:91], -v[104:105]
	v_fma_f64 v[64:65], v[56:57], v[92:93], v[110:111]
	v_mul_f64 v[100:101], v[38:39], v[18:19]
	v_mul_f64 v[102:103], v[42:43], v[20:21]
	s_waitcnt lgkmcnt(3)
	v_mul_f64 v[42:43], v[62:63], v[86:87]
	v_mul_f64 v[92:93], v[58:59], v[92:93]
	v_fma_f64 v[90:91], v[40:41], v[20:21], v[108:109]
	s_waitcnt lgkmcnt(2)
	v_mul_f64 v[104:105], v[46:47], v[82:83]
	s_mov_b32 s16, 0x93053d00
	s_mov_b32 s21, 0x3fddbe06
	v_fma_f64 v[58:59], v[36:37], v[16:17], v[100:101]
	v_mul_f64 v[100:101], v[34:35], v[14:15]
	v_fma_f64 v[42:43], v[60:61], v[84:85], v[42:43]
	v_fma_f64 v[40:41], v[40:41], v[22:23], -v[102:103]
	v_mul_f64 v[102:103], v[38:39], v[16:17]
	v_mul_f64 v[84:85], v[62:63], v[84:85]
	v_fma_f64 v[22:23], v[56:57], v[94:95], -v[92:93]
	v_mul_f64 v[92:93], v[30:31], v[6:7]
	s_waitcnt lgkmcnt(0)
	v_mul_f64 v[94:95], v[54:55], v[74:75]
	v_fma_f64 v[38:39], v[32:33], v[12:13], v[100:101]
	v_mul_f64 v[100:101], v[50:51], v[78:79]
	v_mul_f64 v[12:13], v[34:35], v[12:13]
	v_fma_f64 v[62:63], v[36:37], v[18:19], -v[102:103]
	v_fma_f64 v[36:37], v[60:61], v[86:87], -v[84:85]
	v_mul_f64 v[86:87], v[26:27], v[10:11]
	v_fma_f64 v[84:85], v[28:29], v[4:5], v[92:93]
	v_fma_f64 v[18:19], v[52:53], v[72:73], v[94:95]
	v_mul_f64 v[4:5], v[30:31], v[4:5]
	v_mul_f64 v[34:35], v[54:55], v[72:73]
	v_fma_f64 v[30:31], v[48:49], v[76:77], v[100:101]
	v_mul_f64 v[76:77], v[50:51], v[76:77]
	s_mov_b32 s20, 0x4267c47c
	v_fma_f64 v[54:55], v[24:25], v[8:9], v[86:87]
	v_mul_f64 v[8:9], v[26:27], v[8:9]
	v_add_f64 v[110:111], v[84:85], -v[18:19]
	v_fma_f64 v[72:73], v[28:29], v[6:7], -v[4:5]
	v_fma_f64 v[26:27], v[52:53], v[74:75], -v[34:35]
	v_mul_f64 v[4:5], v[46:47], v[80:81]
	s_mov_b32 s17, 0xbfef11f4
	v_fma_f64 v[16:17], v[44:45], v[80:81], v[104:105]
	v_add_f64 v[108:109], v[54:55], -v[30:31]
	v_fma_f64 v[52:53], v[24:25], v[10:11], -v[8:9]
	v_fma_f64 v[24:25], v[48:49], v[78:79], -v[76:77]
	v_mul_f64 v[6:7], v[110:111], s[18:19]
	v_add_f64 v[46:47], v[72:73], v[26:27]
	v_fma_f64 v[28:29], v[44:45], v[82:83], -v[4:5]
	s_mov_b32 s22, 0xe00740e9
	s_mov_b32 s23, 0x3fec55a7
	v_mul_f64 v[4:5], v[108:109], s[20:21]
	v_add_f64 v[60:61], v[38:39], -v[16:17]
	v_add_f64 v[34:35], v[52:53], v[24:25]
	v_fma_f64 v[50:51], v[32:33], v[14:15], -v[12:13]
	v_fma_f64 v[8:9], v[46:47], s[16:17], v[6:7]
	v_add_f64 v[82:83], v[72:73], -v[26:27]
	s_mov_b32 s26, 0x24c2f84
	s_mov_b32 s27, 0xbfe5384d
	v_add_f64 v[56:57], v[58:59], -v[42:43]
	v_mul_f64 v[10:11], v[60:61], s[26:27]
	v_fma_f64 v[12:13], v[34:35], s[22:23], v[4:5]
	v_add_f64 v[44:45], v[50:51], v[28:29]
	v_add_f64 v[8:9], v[2:3], v[8:9]
	v_add_f64 v[80:81], v[52:53], -v[24:25]
	v_add_f64 v[78:79], v[84:85], v[18:19]
	s_mov_b32 s40, 0x42a4c3d2
	s_mov_b32 s24, 0xd0032e0c
	s_mov_b32 s41, 0x3fea55e2
	s_mov_b32 s25, 0xbfe7f3cc
	v_mul_f64 v[14:15], v[56:57], s[40:41]
	v_add_f64 v[8:9], v[12:13], v[8:9]
	v_mul_f64 v[12:13], v[82:83], s[18:19]
	v_add_f64 v[32:33], v[62:63], v[36:37]
	v_fma_f64 v[74:75], v[44:45], s[24:25], v[10:11]
	v_add_f64 v[86:87], v[50:51], -v[28:29]
	v_add_f64 v[76:77], v[54:55], v[30:31]
	v_mul_f64 v[94:95], v[80:81], s[20:21]
	s_mov_b32 s34, 0x1ea71119
	s_mov_b32 s35, 0x3fe22d96
	v_fma_f64 v[102:103], v[78:79], s[16:17], -v[12:13]
	v_fma_f64 v[68:69], v[68:69], v[98:99], -v[106:107]
	v_add_f64 v[98:99], v[90:91], -v[64:65]
	v_fma_f64 v[92:93], v[32:33], s[34:35], v[14:15]
	v_add_f64 v[8:9], v[74:75], v[8:9]
	v_add_f64 v[100:101], v[62:63], -v[36:37]
	v_add_f64 v[74:75], v[38:39], v[16:17]
	v_mul_f64 v[118:119], v[86:87], s[26:27]
	v_fma_f64 v[120:121], v[76:77], s[22:23], -v[94:95]
	v_add_f64 v[102:103], v[0:1], v[102:103]
	v_fma_f64 v[6:7], v[46:47], s[16:17], -v[6:7]
	s_mov_b32 s14, 0x2ef20147
	s_mov_b32 s15, 0xbfedeba7
	v_add_f64 v[96:97], v[70:71], -v[66:67]
	v_mul_f64 v[114:115], v[98:99], s[14:15]
	v_add_f64 v[48:49], v[40:41], v[22:23]
	v_add_f64 v[8:9], v[92:93], v[8:9]
	v_add_f64 v[106:107], v[40:41], -v[22:23]
	v_add_f64 v[92:93], v[58:59], v[42:43]
	v_mul_f64 v[122:123], v[100:101], s[40:41]
	v_fma_f64 v[125:126], v[74:75], s[24:25], -v[118:119]
	v_fma_f64 v[12:13], v[78:79], s[16:17], v[12:13]
	v_add_f64 v[120:121], v[120:121], v[102:103]
	v_fma_f64 v[4:5], v[34:35], s[22:23], -v[4:5]
	v_add_f64 v[6:7], v[2:3], v[6:7]
	s_mov_b32 s30, 0x66966769
	s_mov_b32 s28, 0xb2365da1
	;; [unrolled: 1-line block ×4, first 2 shown]
	v_add_f64 v[20:21], v[88:89], v[68:69]
	v_mul_f64 v[112:113], v[96:97], s[30:31]
	v_fma_f64 v[116:117], v[48:49], s[28:29], v[114:115]
	v_add_f64 v[104:105], v[88:89], -v[68:69]
	v_add_f64 v[102:103], v[90:91], v[64:65]
	v_mul_f64 v[127:128], v[106:107], s[14:15]
	v_fma_f64 v[129:130], v[92:93], s[34:35], -v[122:123]
	v_fma_f64 v[131:132], v[76:77], s[22:23], v[94:95]
	v_add_f64 v[12:13], v[0:1], v[12:13]
	v_add_f64 v[120:121], v[125:126], v[120:121]
	v_fma_f64 v[10:11], v[44:45], s[24:25], -v[10:11]
	v_add_f64 v[4:5], v[4:5], v[6:7]
	s_mov_b32 s2, 0xebaa3ed8
	s_mov_b32 s3, 0x3fbedb7d
	v_add_f64 v[94:95], v[70:71], v[66:67]
	v_mul_f64 v[125:126], v[104:105], s[30:31]
	v_fma_f64 v[6:7], v[102:103], s[28:29], -v[127:128]
	v_fma_f64 v[118:119], v[74:75], s[24:25], v[118:119]
	v_add_f64 v[12:13], v[131:132], v[12:13]
	v_add_f64 v[120:121], v[129:130], v[120:121]
	v_fma_f64 v[14:15], v[32:33], s[34:35], -v[14:15]
	v_add_f64 v[4:5], v[10:11], v[4:5]
	v_fma_f64 v[10:11], v[20:21], s[2:3], v[112:113]
	v_add_f64 v[8:9], v[116:117], v[8:9]
	v_fma_f64 v[116:117], v[94:95], s[2:3], -v[125:126]
	v_fma_f64 v[122:123], v[92:93], s[34:35], v[122:123]
	v_add_f64 v[12:13], v[118:119], v[12:13]
	v_add_f64 v[118:119], v[6:7], v[120:121]
	v_fma_f64 v[114:115], v[48:49], s[28:29], -v[114:115]
	v_add_f64 v[14:15], v[14:15], v[4:5]
	s_mov_b32 s37, 0xbfea55e2
	v_add_f64 v[6:7], v[10:11], v[8:9]
	v_mul_f64 v[10:11], v[110:111], s[26:27]
	v_fma_f64 v[8:9], v[102:103], s[28:29], v[127:128]
	v_add_f64 v[12:13], v[122:123], v[12:13]
	v_add_f64 v[4:5], v[116:117], v[118:119]
	v_mul_f64 v[118:119], v[108:109], s[30:31]
	v_add_f64 v[14:15], v[114:115], v[14:15]
	v_mul_f64 v[114:115], v[82:83], s[26:27]
	s_mov_b32 s36, s40
	v_fma_f64 v[120:121], v[46:47], s[24:25], v[10:11]
	v_fma_f64 v[116:117], v[94:95], s[2:3], v[125:126]
	v_add_f64 v[8:9], v[8:9], v[12:13]
	v_mul_f64 v[12:13], v[80:81], s[30:31]
	v_mul_f64 v[125:126], v[60:61], s[36:37]
	v_fma_f64 v[127:128], v[34:35], s[2:3], v[118:119]
	v_fma_f64 v[122:123], v[78:79], s[24:25], -v[114:115]
	s_mov_b32 s45, 0x3fcea1e5
	v_add_f64 v[120:121], v[2:3], v[120:121]
	s_mov_b32 s44, s18
	v_mul_f64 v[129:130], v[86:87], s[36:37]
	v_fma_f64 v[131:132], v[76:77], s[2:3], -v[12:13]
	v_mul_f64 v[133:134], v[56:57], s[44:45]
	v_fma_f64 v[135:136], v[44:45], s[34:35], v[125:126]
	v_add_f64 v[122:123], v[0:1], v[122:123]
	v_mul_f64 v[139:140], v[100:101], s[44:45]
	v_add_f64 v[120:121], v[127:128], v[120:121]
	v_mul_f64 v[127:128], v[98:99], s[20:21]
	v_fma_f64 v[141:142], v[74:75], s[34:35], -v[129:130]
	v_fma_f64 v[10:11], v[46:47], s[24:25], -v[10:11]
	v_fma_f64 v[114:115], v[78:79], s[24:25], v[114:115]
	v_mul_f64 v[137:138], v[96:97], s[14:15]
	v_add_f64 v[122:123], v[131:132], v[122:123]
	v_fma_f64 v[131:132], v[32:33], s[16:17], v[133:134]
	v_add_f64 v[120:121], v[135:136], v[120:121]
	v_fma_f64 v[135:136], v[48:49], s[22:23], v[127:128]
	v_mul_f64 v[143:144], v[106:107], s[20:21]
	v_fma_f64 v[145:146], v[92:93], s[16:17], -v[139:140]
	v_fma_f64 v[118:119], v[34:35], s[2:3], -v[118:119]
	v_add_f64 v[10:11], v[2:3], v[10:11]
	v_add_f64 v[122:123], v[141:142], v[122:123]
	v_fma_f64 v[12:13], v[76:77], s[2:3], v[12:13]
	v_add_f64 v[120:121], v[131:132], v[120:121]
	v_add_f64 v[114:115], v[0:1], v[114:115]
	v_fma_f64 v[112:113], v[20:21], s[2:3], -v[112:113]
	v_mul_f64 v[131:132], v[104:105], s[14:15]
	v_fma_f64 v[141:142], v[102:103], s[22:23], -v[143:144]
	v_fma_f64 v[125:126], v[44:45], s[34:35], -v[125:126]
	v_add_f64 v[122:123], v[145:146], v[122:123]
	v_add_f64 v[10:11], v[118:119], v[10:11]
	v_fma_f64 v[118:119], v[20:21], s[28:29], v[137:138]
	v_fma_f64 v[129:130], v[74:75], s[34:35], v[129:130]
	v_add_f64 v[12:13], v[12:13], v[114:115]
	v_add_f64 v[114:115], v[135:136], v[120:121]
	v_fma_f64 v[120:121], v[94:95], s[28:29], -v[131:132]
	v_fma_f64 v[133:134], v[32:33], s[16:17], -v[133:134]
	v_add_f64 v[122:123], v[141:142], v[122:123]
	v_add_f64 v[125:126], v[125:126], v[10:11]
	;; [unrolled: 1-line block ×3, first 2 shown]
	v_fma_f64 v[112:113], v[92:93], s[16:17], v[139:140]
	v_add_f64 v[129:130], v[129:130], v[12:13]
	v_add_f64 v[10:11], v[118:119], v[114:115]
	v_fma_f64 v[114:115], v[48:49], s[22:23], -v[127:128]
	v_mul_f64 v[118:119], v[110:111], s[14:15]
	v_mul_f64 v[127:128], v[82:83], s[14:15]
	s_mov_b32 s43, 0x3fe5384d
	s_mov_b32 s42, s26
	v_add_f64 v[12:13], v[116:117], v[8:9]
	v_add_f64 v[8:9], v[120:121], v[122:123]
	;; [unrolled: 1-line block ×3, first 2 shown]
	v_fma_f64 v[120:121], v[102:103], s[22:23], v[143:144]
	v_add_f64 v[112:113], v[112:113], v[129:130]
	v_mul_f64 v[122:123], v[108:109], s[42:43]
	v_fma_f64 v[129:130], v[46:47], s[28:29], v[118:119]
	v_mul_f64 v[133:134], v[80:81], s[42:43]
	v_fma_f64 v[135:136], v[78:79], s[28:29], -v[127:128]
	v_mul_f64 v[141:142], v[86:87], s[20:21]
	v_add_f64 v[114:115], v[114:115], v[116:117]
	v_fma_f64 v[116:117], v[94:95], s[28:29], v[131:132]
	v_add_f64 v[112:113], v[120:121], v[112:113]
	v_mul_f64 v[120:121], v[60:61], s[20:21]
	v_fma_f64 v[131:132], v[34:35], s[24:25], v[122:123]
	v_add_f64 v[129:130], v[2:3], v[129:130]
	v_fma_f64 v[143:144], v[76:77], s[24:25], -v[133:134]
	v_add_f64 v[135:136], v[0:1], v[135:136]
	s_mov_b32 s39, 0xbfefc445
	s_mov_b32 s38, s30
	v_fma_f64 v[125:126], v[20:21], s[28:29], -v[137:138]
	v_mul_f64 v[137:138], v[56:57], s[38:39]
	v_fma_f64 v[139:140], v[44:45], s[22:23], v[120:121]
	v_add_f64 v[129:130], v[131:132], v[129:130]
	v_fma_f64 v[118:119], v[46:47], s[28:29], -v[118:119]
	v_mul_f64 v[149:150], v[100:101], s[38:39]
	v_fma_f64 v[151:152], v[74:75], s[22:23], -v[141:142]
	v_add_f64 v[135:136], v[143:144], v[135:136]
	v_mul_f64 v[145:146], v[98:99], s[44:45]
	v_fma_f64 v[147:148], v[32:33], s[2:3], v[137:138]
	v_fma_f64 v[122:123], v[34:35], s[24:25], -v[122:123]
	v_add_f64 v[129:130], v[139:140], v[129:130]
	v_add_f64 v[118:119], v[2:3], v[118:119]
	v_mul_f64 v[143:144], v[106:107], s[44:45]
	v_fma_f64 v[153:154], v[92:93], s[2:3], -v[149:150]
	v_fma_f64 v[127:128], v[78:79], s[28:29], v[127:128]
	v_add_f64 v[135:136], v[151:152], v[135:136]
	v_mul_f64 v[131:132], v[96:97], s[40:41]
	v_fma_f64 v[139:140], v[48:49], s[16:17], v[145:146]
	v_add_f64 v[129:130], v[147:148], v[129:130]
	v_fma_f64 v[120:121], v[44:45], s[22:23], -v[120:121]
	v_add_f64 v[118:119], v[122:123], v[118:119]
	v_mul_f64 v[122:123], v[104:105], s[40:41]
	v_fma_f64 v[147:148], v[102:103], s[16:17], -v[143:144]
	v_fma_f64 v[133:134], v[76:77], s[24:25], v[133:134]
	v_add_f64 v[127:128], v[0:1], v[127:128]
	v_add_f64 v[135:136], v[153:154], v[135:136]
	v_fma_f64 v[151:152], v[20:21], s[34:35], v[131:132]
	v_fma_f64 v[137:138], v[32:33], s[2:3], -v[137:138]
	v_add_f64 v[118:119], v[120:121], v[118:119]
	v_add_f64 v[120:121], v[139:140], v[129:130]
	v_fma_f64 v[129:130], v[94:95], s[34:35], -v[122:123]
	v_fma_f64 v[139:140], v[74:75], s[22:23], v[141:142]
	v_add_f64 v[127:128], v[133:134], v[127:128]
	v_add_f64 v[133:134], v[147:148], v[135:136]
	;; [unrolled: 1-line block ×6, first 2 shown]
	v_fma_f64 v[120:121], v[92:93], s[2:3], v[149:150]
	v_fma_f64 v[125:126], v[48:49], s[16:17], -v[145:146]
	v_add_f64 v[127:128], v[139:140], v[127:128]
	v_add_f64 v[116:117], v[129:130], v[133:134]
	v_mul_f64 v[129:130], v[110:111], s[38:39]
	v_mul_f64 v[133:134], v[82:83], s[38:39]
	s_mov_b32 s41, 0x3fedeba7
	s_mov_b32 s40, s14
	v_mul_f64 v[139:140], v[80:81], s[18:19]
	v_add_f64 v[125:126], v[125:126], v[135:136]
	v_add_f64 v[120:121], v[120:121], v[127:128]
	v_mul_f64 v[127:128], v[108:109], s[18:19]
	v_fma_f64 v[137:138], v[46:47], s[2:3], v[129:130]
	v_fma_f64 v[135:136], v[94:95], s[34:35], v[122:123]
	;; [unrolled: 1-line block ×3, first 2 shown]
	v_fma_f64 v[141:142], v[78:79], s[2:3], -v[133:134]
	v_mul_f64 v[143:144], v[60:61], s[40:41]
	v_fma_f64 v[129:130], v[46:47], s[2:3], -v[129:130]
	v_mul_f64 v[147:148], v[86:87], s[40:41]
	v_fma_f64 v[145:146], v[34:35], s[16:17], v[127:128]
	v_add_f64 v[137:138], v[2:3], v[137:138]
	v_fma_f64 v[149:150], v[76:77], s[16:17], -v[139:140]
	v_mul_f64 v[151:152], v[56:57], s[20:21]
	v_add_f64 v[141:142], v[0:1], v[141:142]
	v_fma_f64 v[127:128], v[34:35], s[16:17], -v[127:128]
	v_add_f64 v[129:130], v[2:3], v[129:130]
	v_fma_f64 v[153:154], v[44:45], s[28:29], v[143:144]
	v_fma_f64 v[157:158], v[74:75], s[28:29], -v[147:148]
	v_add_f64 v[137:138], v[145:146], v[137:138]
	v_mul_f64 v[145:146], v[100:101], s[20:21]
	v_fma_f64 v[143:144], v[44:45], s[28:29], -v[143:144]
	v_add_f64 v[141:142], v[149:150], v[141:142]
	v_mul_f64 v[149:150], v[98:99], s[36:37]
	v_add_f64 v[127:128], v[127:128], v[129:130]
	v_fma_f64 v[129:130], v[32:33], s[22:23], v[151:152]
	v_fma_f64 v[151:152], v[32:33], s[22:23], -v[151:152]
	v_add_f64 v[137:138], v[153:154], v[137:138]
	v_mul_f64 v[153:154], v[106:107], s[36:37]
	v_fma_f64 v[159:160], v[92:93], s[22:23], -v[145:146]
	v_add_f64 v[141:142], v[157:158], v[141:142]
	v_mul_f64 v[157:158], v[96:97], s[26:27]
	v_add_f64 v[127:128], v[143:144], v[127:128]
	v_fma_f64 v[143:144], v[48:49], s[34:35], v[149:150]
	v_fma_f64 v[131:132], v[20:21], s[34:35], -v[131:132]
	v_add_f64 v[129:130], v[129:130], v[137:138]
	v_mul_f64 v[137:138], v[104:105], s[26:27]
	v_fma_f64 v[161:162], v[102:103], s[34:35], -v[153:154]
	v_add_f64 v[141:142], v[159:160], v[141:142]
	v_add_f64 v[120:121], v[122:123], v[120:121]
	v_fma_f64 v[149:150], v[48:49], s[34:35], -v[149:150]
	v_add_f64 v[127:128], v[151:152], v[127:128]
	v_fma_f64 v[151:152], v[20:21], s[24:25], v[157:158]
	v_add_f64 v[129:130], v[143:144], v[129:130]
	v_mul_f64 v[143:144], v[110:111], s[36:37]
	v_add_f64 v[122:123], v[131:132], v[125:126]
	v_fma_f64 v[125:126], v[94:95], s[24:25], -v[137:138]
	v_add_f64 v[131:132], v[161:162], v[141:142]
	v_fma_f64 v[141:142], v[20:21], s[24:25], -v[157:158]
	v_add_f64 v[149:150], v[149:150], v[127:128]
	v_add_f64 v[120:121], v[135:136], v[120:121]
	;; [unrolled: 1-line block ×3, first 2 shown]
	v_mul_f64 v[129:130], v[82:83], s[36:37]
	v_fma_f64 v[133:134], v[78:79], s[2:3], v[133:134]
	v_mul_f64 v[135:136], v[108:109], s[14:15]
	v_fma_f64 v[151:152], v[46:47], s[34:35], v[143:144]
	v_add_f64 v[125:126], v[125:126], v[131:132]
	v_add_f64 v[131:132], v[141:142], v[149:150]
	v_fma_f64 v[139:140], v[76:77], s[16:17], v[139:140]
	v_mul_f64 v[141:142], v[80:81], s[14:15]
	v_fma_f64 v[149:150], v[78:79], s[34:35], -v[129:130]
	v_add_f64 v[133:134], v[0:1], v[133:134]
	v_mul_f64 v[157:158], v[60:61], s[18:19]
	v_fma_f64 v[159:160], v[34:35], s[28:29], v[135:136]
	v_add_f64 v[151:152], v[2:3], v[151:152]
	v_fma_f64 v[147:148], v[74:75], s[28:29], v[147:148]
	v_add_f64 v[72:73], v[2:3], v[72:73]
	v_fma_f64 v[163:164], v[76:77], s[28:29], -v[141:142]
	v_add_f64 v[149:150], v[0:1], v[149:150]
	v_add_f64 v[133:134], v[139:140], v[133:134]
	v_mul_f64 v[139:140], v[56:57], s[42:43]
	v_fma_f64 v[165:166], v[44:45], s[16:17], v[157:158]
	v_add_f64 v[151:152], v[159:160], v[151:152]
	v_add_f64 v[84:85], v[0:1], v[84:85]
	v_fma_f64 v[145:146], v[92:93], s[22:23], v[145:146]
	v_add_f64 v[52:53], v[72:73], v[52:53]
	v_add_f64 v[149:150], v[163:164], v[149:150]
	;; [unrolled: 1-line block ×3, first 2 shown]
	v_fma_f64 v[163:164], v[32:33], s[24:25], v[139:140]
	v_fma_f64 v[143:144], v[46:47], s[34:35], -v[143:144]
	v_add_f64 v[151:152], v[165:166], v[151:152]
	v_add_f64 v[54:55], v[84:85], v[54:55]
	v_fma_f64 v[135:136], v[34:35], s[28:29], -v[135:136]
	v_add_f64 v[50:51], v[52:53], v[50:51]
	v_fma_f64 v[129:130], v[78:79], s[34:35], v[129:130]
	v_add_f64 v[133:134], v[145:146], v[133:134]
	v_mul_f64 v[145:146], v[96:97], s[20:21]
	v_add_f64 v[143:144], v[2:3], v[143:144]
	v_add_f64 v[151:152], v[163:164], v[151:152]
	v_mul_f64 v[163:164], v[104:105], s[20:21]
	s_mov_b32 s21, 0xbfddbe06
	v_add_f64 v[38:39], v[54:55], v[38:39]
	v_mul_f64 v[110:111], v[110:111], s[20:21]
	v_add_f64 v[50:51], v[50:51], v[62:63]
	v_mul_f64 v[161:162], v[86:87], s[18:19]
	v_fma_f64 v[157:158], v[44:45], s[16:17], -v[157:158]
	v_add_f64 v[135:136], v[135:136], v[143:144]
	v_fma_f64 v[141:142], v[76:77], s[28:29], v[141:142]
	v_add_f64 v[129:130], v[0:1], v[129:130]
	v_add_f64 v[58:59], v[38:39], v[58:59]
	v_mul_f64 v[108:109], v[108:109], s[36:37]
	v_fma_f64 v[143:144], v[46:47], s[22:23], v[110:111]
	v_add_f64 v[40:41], v[50:51], v[40:41]
	v_mul_f64 v[159:160], v[100:101], s[42:43]
	v_fma_f64 v[167:168], v[74:75], s[16:17], -v[161:162]
	v_mul_f64 v[147:148], v[98:99], s[30:31]
	v_fma_f64 v[139:140], v[32:33], s[24:25], -v[139:140]
	v_add_f64 v[50:51], v[58:59], v[90:91]
	v_add_f64 v[135:136], v[157:158], v[135:136]
	v_fma_f64 v[157:158], v[74:75], s[16:17], v[161:162]
	v_add_f64 v[129:130], v[141:142], v[129:130]
	v_mul_f64 v[60:61], v[60:61], s[38:39]
	v_fma_f64 v[141:142], v[34:35], s[34:35], v[108:109]
	v_add_f64 v[143:144], v[2:3], v[143:144]
	v_mul_f64 v[58:59], v[82:83], s[20:21]
	v_add_f64 v[40:41], v[40:41], v[88:89]
	v_add_f64 v[50:51], v[50:51], v[70:71]
	;; [unrolled: 1-line block ×3, first 2 shown]
	v_fma_f64 v[167:168], v[48:49], s[2:3], v[147:148]
	v_fma_f64 v[147:148], v[48:49], s[2:3], -v[147:148]
	v_add_f64 v[72:73], v[139:140], v[135:136]
	v_fma_f64 v[84:85], v[92:93], s[24:25], v[159:160]
	v_add_f64 v[129:130], v[157:158], v[129:130]
	v_mul_f64 v[56:57], v[56:57], s[14:15]
	v_fma_f64 v[135:136], v[44:45], s[2:3], v[60:61]
	v_add_f64 v[139:140], v[141:142], v[143:144]
	v_fma_f64 v[46:47], v[46:47], s[22:23], -v[110:111]
	v_mul_f64 v[80:81], v[80:81], s[36:37]
	v_fma_f64 v[70:71], v[78:79], s[22:23], v[58:59]
	v_fma_f64 v[58:59], v[78:79], s[22:23], -v[58:59]
	v_add_f64 v[40:41], v[40:41], v[68:69]
	v_add_f64 v[50:51], v[50:51], v[66:67]
	;; [unrolled: 1-line block ×4, first 2 shown]
	v_mul_f64 v[84:85], v[98:99], s[26:27]
	v_fma_f64 v[98:99], v[32:33], s[28:29], v[56:57]
	v_add_f64 v[129:130], v[135:136], v[139:140]
	v_mul_f64 v[86:87], v[86:87], s[38:39]
	v_fma_f64 v[34:35], v[34:35], s[34:35], -v[108:109]
	v_add_f64 v[2:3], v[2:3], v[46:47]
	v_fma_f64 v[46:47], v[76:77], s[34:35], v[80:81]
	v_add_f64 v[66:67], v[0:1], v[70:71]
	v_fma_f64 v[68:69], v[76:77], s[34:35], -v[80:81]
	v_add_f64 v[0:1], v[0:1], v[58:59]
	v_add_f64 v[22:23], v[40:41], v[22:23]
	v_add_f64 v[40:41], v[50:51], v[64:65]
	v_mul_f64 v[62:63], v[96:97], s[18:19]
	v_add_f64 v[96:97], v[98:99], v[129:130]
	v_mul_f64 v[98:99], v[100:101], s[14:15]
	v_fma_f64 v[44:45], v[44:45], s[2:3], -v[60:61]
	v_add_f64 v[2:3], v[34:35], v[2:3]
	v_fma_f64 v[34:35], v[74:75], s[2:3], v[86:87]
	v_add_f64 v[46:47], v[46:47], v[66:67]
	v_mul_f64 v[165:166], v[106:107], s[30:31]
	v_fma_f64 v[50:51], v[74:75], s[2:3], -v[86:87]
	v_add_f64 v[0:1], v[68:69], v[0:1]
	v_add_f64 v[22:23], v[22:23], v[36:37]
	;; [unrolled: 1-line block ×3, first 2 shown]
	v_mul_f64 v[90:91], v[106:107], s[26:27]
	v_fma_f64 v[32:33], v[32:33], s[28:29], -v[56:57]
	v_add_f64 v[2:3], v[44:45], v[2:3]
	v_fma_f64 v[44:45], v[92:93], s[28:29], v[98:99]
	v_add_f64 v[34:35], v[34:35], v[46:47]
	v_fma_f64 v[153:154], v[102:103], s[34:35], v[153:154]
	v_fma_f64 v[169:170], v[92:93], s[24:25], -v[159:160]
	v_fma_f64 v[54:55], v[102:103], s[2:3], v[165:166]
	v_fma_f64 v[40:41], v[92:93], s[28:29], -v[98:99]
	v_add_f64 v[0:1], v[50:51], v[0:1]
	v_add_f64 v[22:23], v[22:23], v[28:29]
	;; [unrolled: 1-line block ×3, first 2 shown]
	v_mul_f64 v[82:83], v[104:105], s[18:19]
	v_fma_f64 v[42:43], v[48:49], s[24:25], -v[84:85]
	v_add_f64 v[2:3], v[32:33], v[2:3]
	v_fma_f64 v[32:33], v[102:103], s[24:25], v[90:91]
	v_add_f64 v[28:29], v[44:45], v[34:35]
	v_add_f64 v[133:134], v[153:154], v[133:134]
	v_fma_f64 v[153:154], v[20:21], s[22:23], v[145:146]
	v_fma_f64 v[145:146], v[20:21], s[22:23], -v[145:146]
	v_fma_f64 v[171:172], v[102:103], s[2:3], -v[165:166]
	v_add_f64 v[149:150], v[169:170], v[149:150]
	v_add_f64 v[54:55], v[54:55], v[72:73]
	v_fma_f64 v[72:73], v[48:49], s[24:25], v[84:85]
	v_fma_f64 v[34:35], v[102:103], s[24:25], -v[90:91]
	v_add_f64 v[0:1], v[40:41], v[0:1]
	v_add_f64 v[22:23], v[22:23], v[24:25]
	v_add_f64 v[16:17], v[16:17], v[30:31]
	v_fma_f64 v[36:37], v[20:21], s[16:17], -v[62:63]
	v_add_f64 v[2:3], v[42:43], v[2:3]
	v_fma_f64 v[40:41], v[94:95], s[16:17], v[82:83]
	v_add_f64 v[24:25], v[32:33], v[28:29]
	v_add_f64 v[38:39], v[145:146], v[52:53]
	v_fma_f64 v[52:53], v[94:95], s[22:23], v[163:164]
	v_fma_f64 v[137:138], v[94:95], s[24:25], v[137:138]
	v_add_f64 v[151:152], v[167:168], v[151:152]
	v_fma_f64 v[167:168], v[94:95], s[22:23], -v[163:164]
	v_add_f64 v[149:150], v[171:172], v[149:150]
	v_fma_f64 v[28:29], v[20:21], s[16:17], v[62:63]
	v_add_f64 v[30:31], v[72:73], v[96:97]
	v_fma_f64 v[32:33], v[94:95], s[16:17], -v[82:83]
	v_add_f64 v[34:35], v[34:35], v[0:1]
	v_add_f64 v[20:21], v[22:23], v[26:27]
	v_add_f64 v[18:19], v[16:17], v[18:19]
	v_add_f64 v[2:3], v[36:37], v[2:3]
	v_add_f64 v[0:1], v[40:41], v[24:25]
	v_add_f64 v[36:37], v[52:53], v[54:55]
	v_add_f64 v[129:130], v[137:138], v[133:134]
	v_add_f64 v[24:25], v[153:154], v[151:152]
	v_add_f64 v[22:23], v[167:168], v[149:150]
	v_add_f64 v[28:29], v[28:29], v[30:31]
	v_add_f64 v[26:27], v[32:33], v[34:35]
	ds_write_b128 v155, v[18:21]
	ds_write_b128 v155, v[0:3] offset:1008
	ds_write_b128 v155, v[36:39] offset:2016
	;; [unrolled: 1-line block ×12, first 2 shown]
.LBB0_21:
	s_or_b64 exec, exec, s[4:5]
	s_waitcnt lgkmcnt(0)
	s_barrier
	s_and_b64 exec, exec, s[0:1]
	s_cbranch_execz .LBB0_23
; %bb.22:
	v_mov_b32_e32 v0, s13
	v_add_co_u32_e32 v40, vcc, s12, v155
	v_addc_co_u32_e32 v41, vcc, 0, v0, vcc
	global_load_dwordx4 v[0:3], v155, s[12:13]
	global_load_dwordx4 v[4:7], v155, s[12:13] offset:1456
	global_load_dwordx4 v[8:11], v155, s[12:13] offset:2912
	s_movk_i32 s0, 0x1000
	v_add_co_u32_e32 v24, vcc, s0, v40
	v_addc_co_u32_e32 v25, vcc, 0, v41, vcc
	global_load_dwordx4 v[12:15], v[24:25], off offset:272
	global_load_dwordx4 v[16:19], v[24:25], off offset:1728
	;; [unrolled: 1-line block ×3, first 2 shown]
	s_movk_i32 s5, 0x2000
	v_add_co_u32_e32 v68, vcc, s5, v40
	v_addc_co_u32_e32 v69, vcc, 0, v41, vcc
	ds_read_b128 v[24:27], v155
	ds_read_b128 v[28:31], v155 offset:1456
	ds_read_b128 v[32:35], v155 offset:2912
	;; [unrolled: 1-line block ×3, first 2 shown]
	global_load_dwordx4 v[40:43], v[68:69], off offset:544
	v_mad_u64_u32 v[64:65], s[0:1], s10, v124, 0
	v_mad_u64_u32 v[66:67], s[2:3], s8, v156, 0
	s_mul_i32 s3, s9, 0x5b0
	s_mul_hi_u32 s4, s8, 0x5b0
	v_mov_b32_e32 v56, v65
	v_mov_b32_e32 v57, v67
	s_add_i32 s3, s4, s3
	v_mad_u64_u32 v[70:71], s[4:5], s11, v124, v[56:57]
	ds_read_b128 v[44:47], v155 offset:5824
	ds_read_b128 v[48:51], v155 offset:7280
	;; [unrolled: 1-line block ×3, first 2 shown]
	v_mad_u64_u32 v[71:72], s[4:5], s9, v156, v[57:58]
	global_load_dwordx4 v[56:59], v[68:69], off offset:2000
	global_load_dwordx4 v[60:63], v[68:69], off offset:3456
	v_mov_b32_e32 v65, v70
	v_lshlrev_b64 v[64:65], 4, v[64:65]
	v_mov_b32_e32 v67, v71
	v_mov_b32_e32 v73, s7
	v_lshlrev_b64 v[66:67], 4, v[66:67]
	v_add_co_u32_e32 v64, vcc, s6, v64
	v_addc_co_u32_e32 v65, vcc, v73, v65, vcc
	v_add_co_u32_e32 v64, vcc, v64, v66
	s_mul_i32 s2, s8, 0x5b0
	v_addc_co_u32_e32 v65, vcc, v65, v67, vcc
	v_mov_b32_e32 v74, s3
	v_add_co_u32_e32 v66, vcc, s2, v64
	v_addc_co_u32_e32 v67, vcc, v65, v74, vcc
	v_mov_b32_e32 v75, s3
	v_add_co_u32_e32 v68, vcc, s2, v66
	v_addc_co_u32_e32 v69, vcc, v67, v75, vcc
	s_mov_b32 s0, 0x14014014
	s_mov_b32 s1, 0x3f540140
	v_mov_b32_e32 v82, s3
	s_waitcnt vmcnt(8) lgkmcnt(6)
	v_mul_f64 v[70:71], v[26:27], v[2:3]
	v_mul_f64 v[2:3], v[24:25], v[2:3]
	s_waitcnt vmcnt(7) lgkmcnt(5)
	v_mul_f64 v[72:73], v[30:31], v[6:7]
	v_mul_f64 v[6:7], v[28:29], v[6:7]
	;; [unrolled: 3-line block ×4, first 2 shown]
	v_fma_f64 v[24:25], v[24:25], v[0:1], v[70:71]
	v_fma_f64 v[2:3], v[0:1], v[26:27], -v[2:3]
	v_fma_f64 v[26:27], v[28:29], v[4:5], v[72:73]
	v_fma_f64 v[6:7], v[4:5], v[30:31], -v[6:7]
	;; [unrolled: 2-line block ×3, first 2 shown]
	s_waitcnt vmcnt(4) lgkmcnt(2)
	v_mul_f64 v[78:79], v[46:47], v[18:19]
	v_mul_f64 v[18:19], v[44:45], v[18:19]
	v_fma_f64 v[30:31], v[36:37], v[12:13], v[76:77]
	v_fma_f64 v[14:15], v[12:13], v[38:39], -v[14:15]
	v_mul_f64 v[0:1], v[24:25], s[0:1]
	v_mul_f64 v[2:3], v[2:3], s[0:1]
	;; [unrolled: 1-line block ×6, first 2 shown]
	s_waitcnt vmcnt(3) lgkmcnt(1)
	v_mul_f64 v[80:81], v[50:51], v[22:23]
	v_mul_f64 v[22:23], v[48:49], v[22:23]
	v_fma_f64 v[24:25], v[44:45], v[16:17], v[78:79]
	v_fma_f64 v[16:17], v[16:17], v[46:47], -v[18:19]
	v_mul_f64 v[12:13], v[30:31], s[0:1]
	v_mul_f64 v[14:15], v[14:15], s[0:1]
	global_store_dwordx4 v[64:65], v[0:3], off
	global_store_dwordx4 v[66:67], v[4:7], off
	;; [unrolled: 1-line block ×3, first 2 shown]
	ds_read_b128 v[4:7], v155 offset:8736
	ds_read_b128 v[8:11], v155 offset:10192
	v_add_co_u32_e32 v18, vcc, s2, v68
	v_addc_co_u32_e32 v19, vcc, v69, v82, vcc
	global_store_dwordx4 v[18:19], v[12:15], off
	v_mul_f64 v[0:1], v[24:25], s[0:1]
	v_mul_f64 v[2:3], v[16:17], s[0:1]
	v_fma_f64 v[12:13], v[48:49], v[20:21], v[80:81]
	v_fma_f64 v[14:15], v[20:21], v[50:51], -v[22:23]
	s_waitcnt vmcnt(6) lgkmcnt(1)
	v_mul_f64 v[16:17], v[6:7], v[42:43]
	v_mul_f64 v[20:21], v[4:5], v[42:43]
	v_mov_b32_e32 v24, s3
	v_add_co_u32_e32 v18, vcc, s2, v18
	v_addc_co_u32_e32 v19, vcc, v19, v24, vcc
	global_store_dwordx4 v[18:19], v[0:3], off
	v_fma_f64 v[4:5], v[4:5], v[40:41], v[16:17]
	v_mul_f64 v[0:1], v[12:13], s[0:1]
	v_mul_f64 v[2:3], v[14:15], s[0:1]
	v_fma_f64 v[6:7], v[40:41], v[6:7], -v[20:21]
	s_waitcnt vmcnt(6) lgkmcnt(0)
	v_mul_f64 v[14:15], v[10:11], v[58:59]
	v_mul_f64 v[16:17], v[8:9], v[58:59]
	v_mov_b32_e32 v13, s3
	v_add_co_u32_e32 v12, vcc, s2, v18
	v_addc_co_u32_e32 v13, vcc, v19, v13, vcc
	s_waitcnt vmcnt(5)
	v_mul_f64 v[18:19], v[54:55], v[62:63]
	v_mul_f64 v[20:21], v[52:53], v[62:63]
	global_store_dwordx4 v[12:13], v[0:3], off
	v_mov_b32_e32 v22, s3
	v_mul_f64 v[0:1], v[4:5], s[0:1]
	v_mul_f64 v[2:3], v[6:7], s[0:1]
	v_fma_f64 v[4:5], v[8:9], v[56:57], v[14:15]
	v_fma_f64 v[6:7], v[56:57], v[10:11], -v[16:17]
	v_fma_f64 v[8:9], v[52:53], v[60:61], v[18:19]
	v_fma_f64 v[10:11], v[60:61], v[54:55], -v[20:21]
	v_add_co_u32_e32 v12, vcc, s2, v12
	v_addc_co_u32_e32 v13, vcc, v13, v22, vcc
	global_store_dwordx4 v[12:13], v[0:3], off
	v_mov_b32_e32 v14, s3
	v_mul_f64 v[0:1], v[4:5], s[0:1]
	v_mul_f64 v[2:3], v[6:7], s[0:1]
	;; [unrolled: 1-line block ×4, first 2 shown]
	v_add_co_u32_e32 v8, vcc, s2, v12
	v_addc_co_u32_e32 v9, vcc, v13, v14, vcc
	global_store_dwordx4 v[8:9], v[0:3], off
	s_nop 0
	v_mov_b32_e32 v1, s3
	v_add_co_u32_e32 v0, vcc, s2, v8
	v_addc_co_u32_e32 v1, vcc, v9, v1, vcc
	global_store_dwordx4 v[0:1], v[4:7], off
.LBB0_23:
	s_endpgm
	.section	.rodata,"a",@progbits
	.p2align	6, 0x0
	.amdhsa_kernel bluestein_single_back_len819_dim1_dp_op_CI_CI
		.amdhsa_group_segment_fixed_size 13104
		.amdhsa_private_segment_fixed_size 0
		.amdhsa_kernarg_size 104
		.amdhsa_user_sgpr_count 6
		.amdhsa_user_sgpr_private_segment_buffer 1
		.amdhsa_user_sgpr_dispatch_ptr 0
		.amdhsa_user_sgpr_queue_ptr 0
		.amdhsa_user_sgpr_kernarg_segment_ptr 1
		.amdhsa_user_sgpr_dispatch_id 0
		.amdhsa_user_sgpr_flat_scratch_init 0
		.amdhsa_user_sgpr_private_segment_size 0
		.amdhsa_uses_dynamic_stack 0
		.amdhsa_system_sgpr_private_segment_wavefront_offset 0
		.amdhsa_system_sgpr_workgroup_id_x 1
		.amdhsa_system_sgpr_workgroup_id_y 0
		.amdhsa_system_sgpr_workgroup_id_z 0
		.amdhsa_system_sgpr_workgroup_info 0
		.amdhsa_system_vgpr_workitem_id 0
		.amdhsa_next_free_vgpr 223
		.amdhsa_next_free_sgpr 46
		.amdhsa_reserve_vcc 1
		.amdhsa_reserve_flat_scratch 0
		.amdhsa_float_round_mode_32 0
		.amdhsa_float_round_mode_16_64 0
		.amdhsa_float_denorm_mode_32 3
		.amdhsa_float_denorm_mode_16_64 3
		.amdhsa_dx10_clamp 1
		.amdhsa_ieee_mode 1
		.amdhsa_fp16_overflow 0
		.amdhsa_exception_fp_ieee_invalid_op 0
		.amdhsa_exception_fp_denorm_src 0
		.amdhsa_exception_fp_ieee_div_zero 0
		.amdhsa_exception_fp_ieee_overflow 0
		.amdhsa_exception_fp_ieee_underflow 0
		.amdhsa_exception_fp_ieee_inexact 0
		.amdhsa_exception_int_div_zero 0
	.end_amdhsa_kernel
	.text
.Lfunc_end0:
	.size	bluestein_single_back_len819_dim1_dp_op_CI_CI, .Lfunc_end0-bluestein_single_back_len819_dim1_dp_op_CI_CI
                                        ; -- End function
	.section	.AMDGPU.csdata,"",@progbits
; Kernel info:
; codeLenInByte = 15740
; NumSgprs: 50
; NumVgprs: 223
; ScratchSize: 0
; MemoryBound: 0
; FloatMode: 240
; IeeeMode: 1
; LDSByteSize: 13104 bytes/workgroup (compile time only)
; SGPRBlocks: 6
; VGPRBlocks: 55
; NumSGPRsForWavesPerEU: 50
; NumVGPRsForWavesPerEU: 223
; Occupancy: 1
; WaveLimiterHint : 1
; COMPUTE_PGM_RSRC2:SCRATCH_EN: 0
; COMPUTE_PGM_RSRC2:USER_SGPR: 6
; COMPUTE_PGM_RSRC2:TRAP_HANDLER: 0
; COMPUTE_PGM_RSRC2:TGID_X_EN: 1
; COMPUTE_PGM_RSRC2:TGID_Y_EN: 0
; COMPUTE_PGM_RSRC2:TGID_Z_EN: 0
; COMPUTE_PGM_RSRC2:TIDIG_COMP_CNT: 0
	.type	__hip_cuid_df47e6e00b806675,@object ; @__hip_cuid_df47e6e00b806675
	.section	.bss,"aw",@nobits
	.globl	__hip_cuid_df47e6e00b806675
__hip_cuid_df47e6e00b806675:
	.byte	0                               ; 0x0
	.size	__hip_cuid_df47e6e00b806675, 1

	.ident	"AMD clang version 19.0.0git (https://github.com/RadeonOpenCompute/llvm-project roc-6.4.0 25133 c7fe45cf4b819c5991fe208aaa96edf142730f1d)"
	.section	".note.GNU-stack","",@progbits
	.addrsig
	.addrsig_sym __hip_cuid_df47e6e00b806675
	.amdgpu_metadata
---
amdhsa.kernels:
  - .args:
      - .actual_access:  read_only
        .address_space:  global
        .offset:         0
        .size:           8
        .value_kind:     global_buffer
      - .actual_access:  read_only
        .address_space:  global
        .offset:         8
        .size:           8
        .value_kind:     global_buffer
      - .actual_access:  read_only
        .address_space:  global
        .offset:         16
        .size:           8
        .value_kind:     global_buffer
      - .actual_access:  read_only
        .address_space:  global
        .offset:         24
        .size:           8
        .value_kind:     global_buffer
      - .actual_access:  read_only
        .address_space:  global
        .offset:         32
        .size:           8
        .value_kind:     global_buffer
      - .offset:         40
        .size:           8
        .value_kind:     by_value
      - .address_space:  global
        .offset:         48
        .size:           8
        .value_kind:     global_buffer
      - .address_space:  global
        .offset:         56
        .size:           8
        .value_kind:     global_buffer
      - .address_space:  global
        .offset:         64
        .size:           8
        .value_kind:     global_buffer
      - .address_space:  global
        .offset:         72
        .size:           8
        .value_kind:     global_buffer
      - .offset:         80
        .size:           4
        .value_kind:     by_value
      - .address_space:  global
        .offset:         88
        .size:           8
        .value_kind:     global_buffer
      - .address_space:  global
        .offset:         96
        .size:           8
        .value_kind:     global_buffer
    .group_segment_fixed_size: 13104
    .kernarg_segment_align: 8
    .kernarg_segment_size: 104
    .language:       OpenCL C
    .language_version:
      - 2
      - 0
    .max_flat_workgroup_size: 117
    .name:           bluestein_single_back_len819_dim1_dp_op_CI_CI
    .private_segment_fixed_size: 0
    .sgpr_count:     50
    .sgpr_spill_count: 0
    .symbol:         bluestein_single_back_len819_dim1_dp_op_CI_CI.kd
    .uniform_work_group_size: 1
    .uses_dynamic_stack: false
    .vgpr_count:     223
    .vgpr_spill_count: 0
    .wavefront_size: 64
amdhsa.target:   amdgcn-amd-amdhsa--gfx906
amdhsa.version:
  - 1
  - 2
...

	.end_amdgpu_metadata
